;; amdgpu-corpus repo=ROCm/rocFFT kind=compiled arch=gfx906 opt=O3
	.text
	.amdgcn_target "amdgcn-amd-amdhsa--gfx906"
	.amdhsa_code_object_version 6
	.protected	bluestein_single_fwd_len325_dim1_half_op_CI_CI ; -- Begin function bluestein_single_fwd_len325_dim1_half_op_CI_CI
	.globl	bluestein_single_fwd_len325_dim1_half_op_CI_CI
	.p2align	8
	.type	bluestein_single_fwd_len325_dim1_half_op_CI_CI,@function
bluestein_single_fwd_len325_dim1_half_op_CI_CI: ; @bluestein_single_fwd_len325_dim1_half_op_CI_CI
; %bb.0:
	s_load_dwordx4 s[0:3], s[4:5], 0x28
	v_mul_u32_u24_e32 v1, 0x13b2, v0
	v_lshrrev_b32_e32 v1, 16, v1
	v_lshl_add_u32 v38, s6, 2, v1
	v_mov_b32_e32 v39, 0
	s_waitcnt lgkmcnt(0)
	v_cmp_gt_u64_e32 vcc, s[0:1], v[38:39]
	s_and_saveexec_b64 s[0:1], vcc
	s_cbranch_execz .LBB0_15
; %bb.1:
	s_load_dwordx4 s[8:11], s[4:5], 0x18
	v_mul_lo_u16_e32 v2, 13, v1
	v_sub_u16_e32 v63, v0, v2
	v_lshlrev_b32_e32 v51, 2, v63
	s_waitcnt lgkmcnt(0)
	s_load_dwordx4 s[12:15], s[8:9], 0x0
	s_waitcnt lgkmcnt(0)
	v_mad_u64_u32 v[2:3], s[0:1], s14, v38, 0
	v_mad_u64_u32 v[4:5], s[0:1], s12, v63, 0
	v_mov_b32_e32 v0, v3
	s_mul_hi_u32 s14, s12, 25
	v_mov_b32_e32 v3, v5
	v_mad_u64_u32 v[5:6], s[0:1], s15, v38, v[0:1]
	v_mad_u64_u32 v[6:7], s[0:1], s13, v63, v[3:4]
	v_mov_b32_e32 v3, v5
	v_lshlrev_b64 v[2:3], 2, v[2:3]
	v_mov_b32_e32 v5, v6
	v_mov_b32_e32 v0, s3
	v_lshlrev_b64 v[4:5], 2, v[4:5]
	v_add_co_u32_e32 v2, vcc, s2, v2
	v_addc_co_u32_e32 v3, vcc, v0, v3, vcc
	v_add_co_u32_e32 v4, vcc, v2, v4
	v_addc_co_u32_e32 v5, vcc, v3, v5, vcc
	global_load_dword v6, v[4:5], off
	s_load_dwordx2 s[2:3], s[4:5], 0x0
	s_load_dwordx2 s[6:7], s[4:5], 0x38
	s_mul_i32 s1, s13, 25
	s_mul_i32 s0, s12, 25
	s_add_i32 s1, s14, s1
	v_and_b32_e32 v0, 3, v1
	s_waitcnt lgkmcnt(0)
	global_load_dword v77, v51, s[2:3]
	s_lshl_b64 s[14:15], s[0:1], 2
	v_mul_u32_u24_e32 v7, 0x145, v0
	v_mov_b32_e32 v9, s15
	v_add_co_u32_e32 v0, vcc, s14, v4
	v_addc_co_u32_e32 v1, vcc, v5, v9, vcc
	s_load_dwordx4 s[8:11], s[10:11], 0x0
	global_load_dword v4, v[0:1], off
	global_load_dword v76, v51, s[2:3] offset:100
	global_load_dword v75, v51, s[2:3] offset:200
	v_add_co_u32_e32 v0, vcc, s14, v0
	v_addc_co_u32_e32 v1, vcc, v1, v9, vcc
	global_load_dword v5, v[0:1], off
	v_add_co_u32_e32 v0, vcc, s14, v0
	v_addc_co_u32_e32 v1, vcc, v1, v9, vcc
	global_load_dword v10, v[0:1], off
	global_load_dword v74, v51, s[2:3] offset:300
	global_load_dword v73, v51, s[2:3] offset:400
	v_add_co_u32_e32 v0, vcc, s14, v0
	v_addc_co_u32_e32 v1, vcc, v1, v9, vcc
	global_load_dword v11, v[0:1], off
	v_add_co_u32_e32 v0, vcc, s14, v0
	v_addc_co_u32_e32 v1, vcc, v1, v9, vcc
	global_load_dword v12, v[0:1], off
	global_load_dword v72, v51, s[2:3] offset:500
	global_load_dword v71, v51, s[2:3] offset:600
	;; [unrolled: 1-line block ×3, first 2 shown]
	v_add_co_u32_e32 v0, vcc, s14, v0
	v_addc_co_u32_e32 v1, vcc, v1, v9, vcc
	global_load_dword v13, v[0:1], off
	global_load_dword v69, v51, s[2:3] offset:800
	global_load_dword v68, v51, s[2:3] offset:900
	v_add_co_u32_e32 v0, vcc, s14, v0
	v_addc_co_u32_e32 v1, vcc, v1, v9, vcc
	global_load_dword v14, v[0:1], off
	v_add_co_u32_e32 v0, vcc, s14, v0
	v_addc_co_u32_e32 v1, vcc, v1, v9, vcc
	global_load_dword v15, v[0:1], off
	;; [unrolled: 3-line block ×3, first 2 shown]
	v_mov_b32_e32 v8, s3
	v_add_co_u32_e32 v36, vcc, s2, v51
	v_addc_co_u32_e32 v37, vcc, 0, v8, vcc
	v_add_co_u32_e32 v0, vcc, s14, v0
	v_addc_co_u32_e32 v1, vcc, v1, v9, vcc
	global_load_dword v17, v[0:1], off
	global_load_dword v67, v51, s[2:3] offset:1000
	v_add_co_u32_e32 v0, vcc, s14, v0
	v_addc_co_u32_e32 v1, vcc, v1, v9, vcc
	global_load_dword v18, v[0:1], off
	global_load_dword v66, v51, s[2:3] offset:1100
	;; [unrolled: 4-line block ×3, first 2 shown]
	v_lshlrev_b32_e32 v78, 2, v7
	v_add_u32_e32 v64, v78, v51
	v_cmp_gt_u16_e32 vcc, 12, v63
	s_waitcnt vmcnt(25)
	v_lshrrev_b32_e32 v8, 16, v6
	s_waitcnt vmcnt(24)
	v_mul_f16_sdwa v19, v77, v8 dst_sel:DWORD dst_unused:UNUSED_PAD src0_sel:WORD_1 src1_sel:DWORD
	v_fma_f16 v19, v77, v6, v19
	v_mul_f16_sdwa v6, v77, v6 dst_sel:DWORD dst_unused:UNUSED_PAD src0_sel:WORD_1 src1_sel:DWORD
	v_fma_f16 v6, v77, v8, -v6
	v_pack_b32_f16 v6, v19, v6
	s_waitcnt vmcnt(23)
	v_lshrrev_b32_e32 v7, 16, v4
	s_waitcnt vmcnt(22)
	v_mul_f16_sdwa v8, v76, v7 dst_sel:DWORD dst_unused:UNUSED_PAD src0_sel:WORD_1 src1_sel:DWORD
	v_fma_f16 v8, v76, v4, v8
	v_mul_f16_sdwa v4, v76, v4 dst_sel:DWORD dst_unused:UNUSED_PAD src0_sel:WORD_1 src1_sel:DWORD
	v_fma_f16 v4, v76, v7, -v4
	v_pack_b32_f16 v4, v8, v4
	ds_write2_b32 v64, v6, v4 offset1:25
	s_waitcnt vmcnt(20)
	v_lshrrev_b32_e32 v4, 16, v5
	v_mul_f16_sdwa v6, v75, v4 dst_sel:DWORD dst_unused:UNUSED_PAD src0_sel:WORD_1 src1_sel:DWORD
	v_fma_f16 v6, v75, v5, v6
	v_mul_f16_sdwa v5, v75, v5 dst_sel:DWORD dst_unused:UNUSED_PAD src0_sel:WORD_1 src1_sel:DWORD
	v_fma_f16 v4, v75, v4, -v5
	s_waitcnt vmcnt(19)
	v_lshrrev_b32_e32 v5, 16, v10
	v_pack_b32_f16 v4, v6, v4
	s_waitcnt vmcnt(18)
	v_mul_f16_sdwa v6, v74, v5 dst_sel:DWORD dst_unused:UNUSED_PAD src0_sel:WORD_1 src1_sel:DWORD
	v_mul_f16_sdwa v7, v74, v10 dst_sel:DWORD dst_unused:UNUSED_PAD src0_sel:WORD_1 src1_sel:DWORD
	v_fma_f16 v6, v74, v10, v6
	v_fma_f16 v5, v74, v5, -v7
	v_pack_b32_f16 v5, v6, v5
	ds_write2_b32 v64, v4, v5 offset0:50 offset1:75
	s_waitcnt vmcnt(16)
	v_lshrrev_b32_e32 v4, 16, v11
	v_mul_f16_sdwa v5, v73, v4 dst_sel:DWORD dst_unused:UNUSED_PAD src0_sel:WORD_1 src1_sel:DWORD
	v_mul_f16_sdwa v6, v73, v11 dst_sel:DWORD dst_unused:UNUSED_PAD src0_sel:WORD_1 src1_sel:DWORD
	v_fma_f16 v5, v73, v11, v5
	v_fma_f16 v4, v73, v4, -v6
	v_pack_b32_f16 v4, v5, v4
	s_waitcnt vmcnt(15)
	v_lshrrev_b32_e32 v5, 16, v12
	s_waitcnt vmcnt(14)
	v_mul_f16_sdwa v6, v72, v5 dst_sel:DWORD dst_unused:UNUSED_PAD src0_sel:WORD_1 src1_sel:DWORD
	v_mul_f16_sdwa v7, v72, v12 dst_sel:DWORD dst_unused:UNUSED_PAD src0_sel:WORD_1 src1_sel:DWORD
	v_fma_f16 v6, v72, v12, v6
	v_fma_f16 v5, v72, v5, -v7
	v_pack_b32_f16 v5, v6, v5
	ds_write2_b32 v64, v4, v5 offset0:100 offset1:125
	s_waitcnt vmcnt(11)
	v_lshrrev_b32_e32 v4, 16, v13
	v_mul_f16_sdwa v5, v71, v4 dst_sel:DWORD dst_unused:UNUSED_PAD src0_sel:WORD_1 src1_sel:DWORD
	v_mul_f16_sdwa v6, v71, v13 dst_sel:DWORD dst_unused:UNUSED_PAD src0_sel:WORD_1 src1_sel:DWORD
	v_fma_f16 v5, v71, v13, v5
	v_fma_f16 v4, v71, v4, -v6
	v_pack_b32_f16 v4, v5, v4
	s_waitcnt vmcnt(8)
	v_lshrrev_b32_e32 v5, 16, v14
	v_mul_f16_sdwa v6, v70, v5 dst_sel:DWORD dst_unused:UNUSED_PAD src0_sel:WORD_1 src1_sel:DWORD
	v_mul_f16_sdwa v7, v70, v14 dst_sel:DWORD dst_unused:UNUSED_PAD src0_sel:WORD_1 src1_sel:DWORD
	v_fma_f16 v6, v70, v14, v6
	v_fma_f16 v5, v70, v5, -v7
	v_pack_b32_f16 v5, v6, v5
	ds_write2_b32 v64, v4, v5 offset0:150 offset1:175
	s_waitcnt vmcnt(7)
	v_lshrrev_b32_e32 v4, 16, v15
	v_mul_f16_sdwa v5, v69, v4 dst_sel:DWORD dst_unused:UNUSED_PAD src0_sel:WORD_1 src1_sel:DWORD
	v_mul_f16_sdwa v6, v69, v15 dst_sel:DWORD dst_unused:UNUSED_PAD src0_sel:WORD_1 src1_sel:DWORD
	v_fma_f16 v5, v69, v15, v5
	v_fma_f16 v4, v69, v4, -v6
	v_pack_b32_f16 v4, v5, v4
	s_waitcnt vmcnt(6)
	v_lshrrev_b32_e32 v5, 16, v16
	v_mul_f16_sdwa v6, v68, v5 dst_sel:DWORD dst_unused:UNUSED_PAD src0_sel:WORD_1 src1_sel:DWORD
	v_mul_f16_sdwa v7, v68, v16 dst_sel:DWORD dst_unused:UNUSED_PAD src0_sel:WORD_1 src1_sel:DWORD
	v_fma_f16 v6, v68, v16, v6
	v_fma_f16 v5, v68, v5, -v7
	v_pack_b32_f16 v5, v6, v5
	ds_write2_b32 v64, v4, v5 offset0:200 offset1:225
	s_waitcnt vmcnt(5)
	v_lshrrev_b32_e32 v4, 16, v17
	s_waitcnt vmcnt(4)
	v_mul_f16_sdwa v5, v67, v4 dst_sel:DWORD dst_unused:UNUSED_PAD src0_sel:WORD_1 src1_sel:DWORD
	v_mul_f16_sdwa v6, v67, v17 dst_sel:DWORD dst_unused:UNUSED_PAD src0_sel:WORD_1 src1_sel:DWORD
	v_fma_f16 v5, v67, v17, v5
	v_fma_f16 v4, v67, v4, -v6
	v_pack_b32_f16 v5, v5, v4
	s_waitcnt vmcnt(3)
	v_lshrrev_b32_e32 v4, 16, v18
	s_waitcnt vmcnt(2)
	v_mul_f16_sdwa v6, v66, v4 dst_sel:DWORD dst_unused:UNUSED_PAD src0_sel:WORD_1 src1_sel:DWORD
	v_mul_f16_sdwa v7, v66, v18 dst_sel:DWORD dst_unused:UNUSED_PAD src0_sel:WORD_1 src1_sel:DWORD
	v_fma_f16 v6, v66, v18, v6
	v_fma_f16 v4, v66, v4, -v7
	v_pack_b32_f16 v6, v6, v4
	v_add_u32_e32 v4, 0x200, v64
	ds_write2_b32 v4, v5, v6 offset0:122 offset1:147
	s_waitcnt vmcnt(1)
	v_lshrrev_b32_e32 v5, 16, v9
	s_waitcnt vmcnt(0)
	v_mul_f16_sdwa v6, v65, v5 dst_sel:DWORD dst_unused:UNUSED_PAD src0_sel:WORD_1 src1_sel:DWORD
	v_mul_f16_sdwa v7, v65, v9 dst_sel:DWORD dst_unused:UNUSED_PAD src0_sel:WORD_1 src1_sel:DWORD
	v_fma_f16 v6, v65, v9, v6
	v_fma_f16 v5, v65, v5, -v7
	v_pack_b32_f16 v5, v6, v5
	ds_write_b32 v64, v5 offset:1200
	s_and_saveexec_b64 s[16:17], vcc
	s_cbranch_execz .LBB0_3
; %bb.2:
	v_mov_b32_e32 v5, 0xfffffb84
	v_mad_u64_u32 v[0:1], s[0:1], s12, v5, v[0:1]
	s_mul_i32 s0, s13, 0xfffffb84
	s_sub_i32 s0, s0, s12
	v_add_u32_e32 v1, s0, v1
	global_load_dword v8, v[0:1], off
	v_mov_b32_e32 v9, s15
	v_add_co_u32_e64 v0, s[0:1], s14, v0
	v_addc_co_u32_e64 v1, s[0:1], v1, v9, s[0:1]
	global_load_dword v10, v[36:37], off offset:52
	global_load_dword v11, v[0:1], off
	global_load_dword v12, v[36:37], off offset:152
	v_add_co_u32_e64 v0, s[0:1], s14, v0
	v_addc_co_u32_e64 v1, s[0:1], v1, v9, s[0:1]
	global_load_dword v13, v[0:1], off
	v_add_co_u32_e64 v0, s[0:1], s14, v0
	v_addc_co_u32_e64 v1, s[0:1], v1, v9, s[0:1]
	global_load_dword v14, v[0:1], off
	global_load_dword v15, v[36:37], off offset:252
	global_load_dword v16, v[36:37], off offset:352
	v_add_co_u32_e64 v0, s[0:1], s14, v0
	v_addc_co_u32_e64 v1, s[0:1], v1, v9, s[0:1]
	global_load_dword v17, v[0:1], off
	v_add_co_u32_e64 v0, s[0:1], s14, v0
	v_addc_co_u32_e64 v1, s[0:1], v1, v9, s[0:1]
	global_load_dword v18, v[0:1], off
	global_load_dword v19, v[36:37], off offset:452
	;; [unrolled: 8-line block ×3, first 2 shown]
	global_load_dword v24, v[36:37], off offset:752
	v_add_co_u32_e64 v0, s[0:1], s14, v0
	v_addc_co_u32_e64 v1, s[0:1], v1, v9, s[0:1]
	global_load_dword v25, v[0:1], off
	v_add_co_u32_e64 v0, s[0:1], s14, v0
	v_or_b32_e32 v7, 0x120, v63
	v_addc_co_u32_e64 v1, s[0:1], v1, v9, s[0:1]
	v_mad_u64_u32 v[5:6], s[0:1], s12, v7, 0
	global_load_dword v26, v[0:1], off
	global_load_dword v27, v[36:37], off offset:852
	global_load_dword v28, v[36:37], off offset:952
	v_mad_u64_u32 v[6:7], s[0:1], s13, v7, v[6:7]
	v_add_co_u32_e64 v0, s[0:1], s14, v0
	v_lshlrev_b64 v[5:6], 2, v[5:6]
	v_addc_co_u32_e64 v1, s[0:1], v1, v9, s[0:1]
	global_load_dword v7, v[0:1], off
	global_load_dword v9, v[36:37], off offset:1052
	v_add_co_u32_e64 v2, s[0:1], v2, v5
	v_addc_co_u32_e64 v3, s[0:1], v3, v6, s[0:1]
	global_load_dword v2, v[2:3], off
	v_mov_b32_e32 v3, 0xc8
	global_load_dword v5, v[36:37], off offset:1152
	v_mad_u64_u32 v[0:1], s[0:1], s12, v3, v[0:1]
	s_mul_i32 s0, s13, 0xc8
	v_add_u32_e32 v1, s0, v1
	global_load_dword v6, v[0:1], off
	global_load_dword v29, v[36:37], off offset:1252
	s_waitcnt vmcnt(25)
	v_lshrrev_b32_e32 v3, 16, v8
	s_waitcnt vmcnt(24)
	v_mul_f16_sdwa v0, v10, v3 dst_sel:DWORD dst_unused:UNUSED_PAD src0_sel:WORD_1 src1_sel:DWORD
	v_mul_f16_sdwa v1, v10, v8 dst_sel:DWORD dst_unused:UNUSED_PAD src0_sel:WORD_1 src1_sel:DWORD
	v_fma_f16 v0, v10, v8, v0
	v_fma_f16 v1, v10, v3, -v1
	v_pack_b32_f16 v0, v0, v1
	s_waitcnt vmcnt(23)
	v_lshrrev_b32_e32 v1, 16, v11
	s_waitcnt vmcnt(22)
	v_mul_f16_sdwa v3, v12, v1 dst_sel:DWORD dst_unused:UNUSED_PAD src0_sel:WORD_1 src1_sel:DWORD
	v_mul_f16_sdwa v8, v12, v11 dst_sel:DWORD dst_unused:UNUSED_PAD src0_sel:WORD_1 src1_sel:DWORD
	v_fma_f16 v3, v12, v11, v3
	v_fma_f16 v1, v12, v1, -v8
	v_pack_b32_f16 v1, v3, v1
	ds_write2_b32 v64, v0, v1 offset0:13 offset1:38
	s_waitcnt vmcnt(21)
	v_lshrrev_b32_e32 v0, 16, v13
	s_waitcnt vmcnt(19)
	v_mul_f16_sdwa v1, v15, v0 dst_sel:DWORD dst_unused:UNUSED_PAD src0_sel:WORD_1 src1_sel:DWORD
	v_mul_f16_sdwa v3, v15, v13 dst_sel:DWORD dst_unused:UNUSED_PAD src0_sel:WORD_1 src1_sel:DWORD
	v_fma_f16 v1, v15, v13, v1
	v_fma_f16 v0, v15, v0, -v3
	v_pack_b32_f16 v0, v1, v0
	v_lshrrev_b32_e32 v1, 16, v14
	s_waitcnt vmcnt(18)
	v_mul_f16_sdwa v3, v16, v1 dst_sel:DWORD dst_unused:UNUSED_PAD src0_sel:WORD_1 src1_sel:DWORD
	v_mul_f16_sdwa v8, v16, v14 dst_sel:DWORD dst_unused:UNUSED_PAD src0_sel:WORD_1 src1_sel:DWORD
	v_fma_f16 v3, v16, v14, v3
	v_fma_f16 v1, v16, v1, -v8
	v_pack_b32_f16 v1, v3, v1
	ds_write2_b32 v64, v0, v1 offset0:63 offset1:88
	s_waitcnt vmcnt(17)
	v_lshrrev_b32_e32 v0, 16, v17
	s_waitcnt vmcnt(15)
	v_mul_f16_sdwa v1, v19, v0 dst_sel:DWORD dst_unused:UNUSED_PAD src0_sel:WORD_1 src1_sel:DWORD
	v_mul_f16_sdwa v3, v19, v17 dst_sel:DWORD dst_unused:UNUSED_PAD src0_sel:WORD_1 src1_sel:DWORD
	v_fma_f16 v1, v19, v17, v1
	v_fma_f16 v0, v19, v0, -v3
	v_pack_b32_f16 v0, v1, v0
	;; [unrolled: 16-line block ×5, first 2 shown]
	s_waitcnt vmcnt(3)
	v_lshrrev_b32_e32 v1, 16, v2
	s_waitcnt vmcnt(2)
	v_mul_f16_sdwa v3, v5, v1 dst_sel:DWORD dst_unused:UNUSED_PAD src0_sel:WORD_1 src1_sel:DWORD
	v_fma_f16 v3, v5, v2, v3
	v_mul_f16_sdwa v2, v5, v2 dst_sel:DWORD dst_unused:UNUSED_PAD src0_sel:WORD_1 src1_sel:DWORD
	v_fma_f16 v1, v5, v1, -v2
	v_pack_b32_f16 v1, v3, v1
	v_add_u32_e32 v2, 0x400, v64
	ds_write2_b32 v2, v0, v1 offset0:7 offset1:32
	s_waitcnt vmcnt(1)
	v_lshrrev_b32_e32 v0, 16, v6
	s_waitcnt vmcnt(0)
	v_mul_f16_sdwa v1, v29, v0 dst_sel:DWORD dst_unused:UNUSED_PAD src0_sel:WORD_1 src1_sel:DWORD
	v_mul_f16_sdwa v2, v29, v6 dst_sel:DWORD dst_unused:UNUSED_PAD src0_sel:WORD_1 src1_sel:DWORD
	v_fma_f16 v1, v29, v6, v1
	v_fma_f16 v0, v29, v0, -v2
	v_pack_b32_f16 v0, v1, v0
	ds_write_b32 v64, v0 offset:1252
.LBB0_3:
	s_or_b64 exec, exec, s[16:17]
	s_waitcnt lgkmcnt(0)
	; wave barrier
	s_waitcnt lgkmcnt(0)
	ds_read2_b32 v[12:13], v64 offset1:25
	ds_read2_b32 v[20:21], v64 offset0:50 offset1:75
	ds_read2_b32 v[16:17], v64 offset0:100 offset1:125
	;; [unrolled: 1-line block ×5, first 2 shown]
	ds_read_b32 v61, v64 offset:1200
	s_load_dwordx2 s[4:5], s[4:5], 0x8
	v_mov_b32_e32 v6, 0
                                        ; implicit-def: $vgpr25
                                        ; implicit-def: $vgpr3
                                        ; implicit-def: $vgpr1
                                        ; implicit-def: $vgpr5
                                        ; implicit-def: $vgpr9
                                        ; implicit-def: $vgpr11
	s_and_saveexec_b64 s[0:1], vcc
	s_cbranch_execz .LBB0_5
; %bb.4:
	ds_read2_b32 v[6:7], v64 offset0:13 offset1:38
	ds_read2_b32 v[10:11], v64 offset0:63 offset1:88
	;; [unrolled: 1-line block ×5, first 2 shown]
	v_add_u32_e32 v2, 0x400, v64
	ds_read2_b32 v[2:3], v2 offset0:7 offset1:32
	ds_read_b32 v25, v64 offset:1252
.LBB0_5:
	s_or_b64 exec, exec, s[0:1]
	v_add_co_u32_e64 v24, s[0:1], 13, v63
	s_waitcnt lgkmcnt(0)
	v_pk_add_f16 v26, v7, v25 neg_lo:[0,1] neg_hi:[0,1]
	s_mov_b32 s0, 0xb770
	v_pk_add_f16 v28, v25, v7
	s_movk_i32 s12, 0x3b15
	v_mul_f16_sdwa v45, v26, s0 dst_sel:DWORD dst_unused:UNUSED_PAD src0_sel:WORD_1 src1_sel:DWORD
	v_lshrrev_b32_e32 v41, 16, v28
	v_mul_f16_e32 v46, 0xb770, v26
	v_fma_f16 v27, v28, s12, v45
	v_add_f16_e32 v30, v27, v6
	v_fma_f16 v27, v41, s12, -v46
	v_add_f16_sdwa v31, v27, v6 dst_sel:DWORD dst_unused:UNUSED_PAD src0_sel:DWORD src1_sel:WORD_1
	v_pk_add_f16 v27, v10, v3 neg_lo:[0,1] neg_hi:[0,1]
	s_mov_b32 s22, 0xba95
	v_pk_add_f16 v29, v3, v10
	s_movk_i32 s13, 0x388b
	v_mul_f16_sdwa v48, v27, s22 dst_sel:DWORD dst_unused:UNUSED_PAD src0_sel:WORD_1 src1_sel:DWORD
	v_lshrrev_b32_e32 v42, 16, v29
	v_mul_f16_e32 v49, 0xba95, v27
	v_fma_f16 v32, v29, s13, v48
	v_add_f16_e32 v32, v32, v30
	v_fma_f16 v30, v42, s13, -v49
	v_add_f16_e32 v33, v30, v31
	v_pk_add_f16 v30, v11, v2 neg_lo:[0,1] neg_hi:[0,1]
	s_mov_b32 s24, 0xbbf1
	v_pk_add_f16 v31, v2, v11
	s_movk_i32 s14, 0x2fb7
	v_mul_f16_sdwa v52, v30, s24 dst_sel:DWORD dst_unused:UNUSED_PAD src0_sel:WORD_1 src1_sel:DWORD
	v_lshrrev_b32_e32 v43, 16, v31
	v_mul_f16_e32 v53, 0xbbf1, v30
	v_fma_f16 v34, v31, s14, v52
	v_add_f16_e32 v34, v34, v32
	v_fma_f16 v32, v43, s14, -v53
	v_add_f16_e32 v35, v32, v33
	v_pk_add_f16 v32, v8, v1 neg_lo:[0,1] neg_hi:[0,1]
	s_mov_b32 s15, 0xbb7b
	v_pk_add_f16 v33, v1, v8
	s_mov_b32 s16, 0xb5ac
	v_mul_f16_sdwa v54, v32, s15 dst_sel:DWORD dst_unused:UNUSED_PAD src0_sel:WORD_1 src1_sel:DWORD
	v_pk_add_f16 v60, v12, v13
	v_lshrrev_b32_e32 v44, 16, v33
	v_mul_f16_e32 v55, 0xbb7b, v32
	v_fma_f16 v39, v33, s16, v54
	v_add_f16_e32 v39, v39, v34
	v_fma_f16 v34, v44, s16, -v55
	v_pk_add_f16 v60, v60, v20
	v_add_f16_e32 v40, v34, v35
	v_pk_add_f16 v34, v9, v0 neg_lo:[0,1] neg_hi:[0,1]
	s_mov_b32 s17, 0xb94e
	v_pk_add_f16 v60, v60, v21
	v_pk_add_f16 v35, v0, v9
	s_mov_b32 s18, 0xb9fd
	v_mul_f16_sdwa v56, v34, s17 dst_sel:DWORD dst_unused:UNUSED_PAD src0_sel:WORD_1 src1_sel:DWORD
	v_pk_add_f16 v60, v60, v16
	v_lshrrev_b32_e32 v47, 16, v35
	v_mul_f16_e32 v57, 0xb94e, v34
	v_fma_f16 v50, v35, s18, v56
	v_pk_add_f16 v60, v60, v17
	v_add_f16_e32 v62, v50, v39
	v_fma_f16 v39, v47, s18, -v57
	v_pk_add_f16 v60, v60, v14
	v_add_f16_e32 v79, v39, v40
	v_pk_add_f16 v39, v4, v5 neg_lo:[0,1] neg_hi:[0,1]
	s_mov_b32 s19, 0xb3a8
	v_pk_add_f16 v60, v60, v15
	v_pk_add_f16 v40, v5, v4
	s_mov_b32 s20, 0xbbc4
	v_mul_f16_sdwa v58, v39, s19 dst_sel:DWORD dst_unused:UNUSED_PAD src0_sel:WORD_1 src1_sel:DWORD
	v_pk_add_f16 v60, v60, v18
	v_lshrrev_b32_e32 v50, 16, v40
	v_mul_f16_e32 v59, 0xb3a8, v39
	v_fma_f16 v80, v40, s20, v58
	v_pk_add_f16 v60, v60, v19
	v_add_f16_e32 v81, v80, v62
	v_fma_f16 v62, v50, s20, -v59
	v_pk_add_f16 v60, v60, v22
	v_add_f16_e32 v80, v62, v79
	v_mul_lo_u16_e32 v62, 13, v63
	v_pk_add_f16 v60, v60, v23
	v_lshl_add_u32 v82, v62, 2, v78
	v_pk_add_f16 v62, v60, v61
	v_pk_add_f16 v60, v61, v13
	v_pk_add_f16 v13, v13, v61 neg_lo:[0,1] neg_hi:[0,1]
	v_mul_f16_sdwa v61, v13, s0 dst_sel:DWORD dst_unused:UNUSED_PAD src0_sel:WORD_1 src1_sel:DWORD
	v_fma_f16 v79, v60, s12, -v61
	v_fma_f16 v61, v60, s12, v61
	s_mov_b32 s0, 0x3b15388b
	v_add_f16_e32 v83, v12, v61
	v_pk_mul_f16 v61, v60, s0
	s_mov_b32 s0, 0xba95b770
	v_pk_fma_f16 v84, v13, s0, v61 op_sel:[0,0,1] op_sel_hi:[1,1,0] neg_lo:[1,0,0] neg_hi:[1,0,0]
	v_pk_fma_f16 v61, v13, s0, v61 op_sel:[0,0,1] op_sel_hi:[1,1,0]
	s_mov_b32 s21, 0xffff
	v_lshrrev_b32_e32 v86, 16, v60
	v_mul_f16_e32 v87, 0xba95, v13
	v_bfi_b32 v85, s21, v61, v84
	v_pk_add_f16 v89, v12, v61 op_sel:[1,0] op_sel_hi:[0,1]
	v_fma_f16 v61, v86, s13, -v87
	v_fma_f16 v88, v86, s13, v87
	v_add_f16_sdwa v87, v12, v61 dst_sel:DWORD dst_unused:UNUSED_PAD src0_sel:WORD_1 src1_sel:DWORD
	v_mul_f16_sdwa v61, v13, s24 dst_sel:DWORD dst_unused:UNUSED_PAD src0_sel:WORD_1 src1_sel:DWORD
	v_fma_f16 v90, v60, s14, -v61
	v_mul_f16_e32 v91, 0xbbf1, v13
	v_fma_f16 v61, v60, s14, v61
	v_add_f16_e32 v93, v12, v61
	v_fma_f16 v61, v86, s14, -v91
	v_fma_f16 v92, v86, s14, v91
	v_add_f16_sdwa v91, v12, v61 dst_sel:DWORD dst_unused:UNUSED_PAD src0_sel:WORD_1 src1_sel:DWORD
	v_mul_f16_sdwa v61, v13, s15 dst_sel:DWORD dst_unused:UNUSED_PAD src0_sel:WORD_1 src1_sel:DWORD
	v_fma_f16 v94, v60, s16, -v61
	v_mul_f16_e32 v95, 0xbb7b, v13
	v_fma_f16 v61, v60, s16, v61
	v_add_f16_e32 v97, v12, v61
	;; [unrolled: 8-line block ×3, first 2 shown]
	v_fma_f16 v61, v86, s18, -v99
	v_fma_f16 v100, v86, s18, v99
	v_add_f16_sdwa v86, v12, v61 dst_sel:DWORD dst_unused:UNUSED_PAD src0_sel:WORD_1 src1_sel:DWORD
	v_pk_add_f16 v61, v23, v20
	v_pk_add_f16 v20, v20, v23 neg_lo:[0,1] neg_hi:[0,1]
	v_mul_f16_sdwa v23, v20, s22 dst_sel:DWORD dst_unused:UNUSED_PAD src0_sel:WORD_1 src1_sel:DWORD
	v_fma_f16 v99, v61, s13, -v23
	v_fma_f16 v23, v61, s13, v23
	s_mov_b32 s0, 0x388bb5ac
	v_add_f16_e32 v79, v12, v79
	v_add_f16_e32 v83, v23, v83
	v_pk_mul_f16 v23, v61, s0
	s_mov_b32 s0, 0xbb7bba95
	v_add_f16_e32 v79, v99, v79
	v_pk_fma_f16 v99, v20, s0, v23 op_sel:[0,0,1] op_sel_hi:[1,1,0] neg_lo:[1,0,0] neg_hi:[1,0,0]
	v_pk_fma_f16 v23, v20, s0, v23 op_sel:[0,0,1] op_sel_hi:[1,1,0]
	v_pk_add_f16 v85, v12, v85 op_sel:[1,0] op_sel_hi:[0,1]
	v_bfi_b32 v102, s21, v23, v99
	v_pk_add_f16 v85, v102, v85
	v_lshrrev_b32_e32 v102, 16, v61
	v_mul_f16_e32 v103, 0xbb7b, v20
	v_pk_add_f16 v89, v23, v89
	v_fma_f16 v23, v102, s16, -v103
	v_add_f16_e32 v87, v23, v87
	v_mul_f16_sdwa v23, v20, s19 dst_sel:DWORD dst_unused:UNUSED_PAD src0_sel:WORD_1 src1_sel:DWORD
	v_add_f16_e32 v90, v12, v90
	v_fma_f16 v104, v102, s16, v103
	v_fma_f16 v103, v61, s20, -v23
	v_add_f16_e32 v90, v103, v90
	v_mul_f16_e32 v103, 0xb3a8, v20
	v_fma_f16 v23, v61, s20, v23
	v_add_f16_e32 v93, v23, v93
	v_fma_f16 v23, v102, s20, -v103
	s_movk_i32 s26, 0x394e
	v_add_f16_sdwa v88, v12, v88 dst_sel:DWORD dst_unused:UNUSED_PAD src0_sel:WORD_1 src1_sel:DWORD
	v_add_f16_e32 v91, v23, v91
	v_mul_f16_sdwa v23, v20, s26 dst_sel:DWORD dst_unused:UNUSED_PAD src0_sel:WORD_1 src1_sel:DWORD
	v_add_f16_e32 v94, v12, v94
	v_add_f16_e32 v88, v104, v88
	v_fma_f16 v104, v102, s20, v103
	v_fma_f16 v103, v61, s18, -v23
	v_add_f16_e32 v94, v103, v94
	v_mul_f16_e32 v103, 0x394e, v20
	v_fma_f16 v23, v61, s18, v23
	v_add_f16_e32 v97, v23, v97
	v_fma_f16 v23, v102, s18, -v103
	s_movk_i32 s23, 0x3bf1
	v_add_f16_sdwa v92, v12, v92 dst_sel:DWORD dst_unused:UNUSED_PAD src0_sel:WORD_1 src1_sel:DWORD
	v_add_f16_e32 v95, v23, v95
	v_mul_f16_sdwa v23, v20, s23 dst_sel:DWORD dst_unused:UNUSED_PAD src0_sel:WORD_1 src1_sel:DWORD
	v_add_f16_e32 v98, v12, v98
	v_add_f16_e32 v92, v104, v92
	v_fma_f16 v104, v102, s18, v103
	v_fma_f16 v103, v61, s14, -v23
	v_add_f16_e32 v98, v103, v98
	v_mul_f16_e32 v103, 0x3bf1, v20
	v_fma_f16 v23, v61, s14, v23
	v_add_f16_e32 v101, v23, v101
	v_fma_f16 v23, v102, s14, -v103
	v_add_f16_e32 v86, v23, v86
	v_pk_add_f16 v23, v22, v21
	v_pk_add_f16 v21, v21, v22 neg_lo:[0,1] neg_hi:[0,1]
	v_add_f16_sdwa v96, v12, v96 dst_sel:DWORD dst_unused:UNUSED_PAD src0_sel:WORD_1 src1_sel:DWORD
	v_mul_f16_sdwa v22, v21, s24 dst_sel:DWORD dst_unused:UNUSED_PAD src0_sel:WORD_1 src1_sel:DWORD
	v_add_f16_e32 v96, v104, v96
	v_fma_f16 v104, v102, s14, v103
	v_fma_f16 v102, v23, s14, -v22
	v_fma_f16 v22, v23, s14, v22
	s_mov_b32 s0, 0x2fb7bbc4
	v_add_f16_e32 v83, v22, v83
	v_pk_mul_f16 v22, v23, s0
	s_mov_b32 s0, 0xb3a8bbf1
	v_add_f16_e32 v79, v102, v79
	v_pk_fma_f16 v102, v21, s0, v22 op_sel:[0,0,1] op_sel_hi:[1,1,0] neg_lo:[1,0,0] neg_hi:[1,0,0]
	v_pk_fma_f16 v22, v21, s0, v22 op_sel:[0,0,1] op_sel_hi:[1,1,0]
	v_add_f16_sdwa v100, v12, v100 dst_sel:DWORD dst_unused:UNUSED_PAD src0_sel:WORD_1 src1_sel:DWORD
	v_bfi_b32 v103, s21, v22, v102
	v_add_f16_e32 v100, v104, v100
	v_pk_add_f16 v85, v103, v85
	v_lshrrev_b32_e32 v103, 16, v23
	v_mul_f16_e32 v104, 0xb3a8, v21
	v_pk_add_f16 v89, v22, v89
	v_fma_f16 v22, v103, s20, -v104
	s_movk_i32 s0, 0x3b7b
	v_add_f16_e32 v87, v22, v87
	v_mul_f16_sdwa v22, v21, s0 dst_sel:DWORD dst_unused:UNUSED_PAD src0_sel:WORD_1 src1_sel:DWORD
	v_fma_f16 v105, v103, s20, v104
	v_fma_f16 v104, v23, s16, -v22
	v_add_f16_e32 v90, v104, v90
	v_mul_f16_e32 v104, 0x3b7b, v21
	v_fma_f16 v22, v23, s16, v22
	v_add_f16_e32 v93, v22, v93
	v_fma_f16 v22, v103, s16, -v104
	s_movk_i32 s25, 0x3770
	v_add_f16_e32 v91, v22, v91
	v_mul_f16_sdwa v22, v21, s25 dst_sel:DWORD dst_unused:UNUSED_PAD src0_sel:WORD_1 src1_sel:DWORD
	v_add_f16_e32 v88, v105, v88
	v_fma_f16 v105, v103, s16, v104
	v_fma_f16 v104, v23, s12, -v22
	v_add_f16_e32 v94, v104, v94
	v_mul_f16_e32 v104, 0x3770, v21
	v_fma_f16 v22, v23, s12, v22
	v_add_f16_e32 v97, v22, v97
	v_fma_f16 v22, v103, s12, -v104
	v_add_f16_e32 v95, v22, v95
	v_mul_f16_sdwa v22, v21, s22 dst_sel:DWORD dst_unused:UNUSED_PAD src0_sel:WORD_1 src1_sel:DWORD
	v_add_f16_e32 v92, v105, v92
	v_fma_f16 v105, v103, s12, v104
	v_fma_f16 v104, v23, s13, -v22
	v_add_f16_e32 v98, v104, v98
	v_mul_f16_e32 v104, 0xba95, v21
	v_fma_f16 v22, v23, s13, v22
	v_add_f16_e32 v101, v22, v101
	v_fma_f16 v22, v103, s13, -v104
	v_add_f16_e32 v86, v22, v86
	v_pk_add_f16 v22, v19, v16
	v_pk_add_f16 v19, v16, v19 neg_lo:[0,1] neg_hi:[0,1]
	v_mul_f16_sdwa v16, v19, s15 dst_sel:DWORD dst_unused:UNUSED_PAD src0_sel:WORD_1 src1_sel:DWORD
	v_add_f16_e32 v96, v105, v96
	v_fma_f16 v105, v103, s13, v104
	v_fma_f16 v103, v22, s16, -v16
	v_fma_f16 v16, v22, s16, v16
	s_mov_b32 s0, 0xb5acb9fd
	v_add_f16_e32 v83, v16, v83
	v_pk_mul_f16 v16, v22, s0
	s_mov_b32 s0, 0x394ebb7b
	v_pk_fma_f16 v104, v19, s0, v16 op_sel:[0,0,1] op_sel_hi:[1,1,0] neg_lo:[1,0,0] neg_hi:[1,0,0]
	v_pk_fma_f16 v16, v19, s0, v16 op_sel:[0,0,1] op_sel_hi:[1,1,0]
	v_add_f16_e32 v103, v103, v79
	v_bfi_b32 v79, s21, v16, v104
	v_add_f16_e32 v100, v105, v100
	v_pk_add_f16 v85, v79, v85
	v_lshrrev_b32_e32 v105, 16, v22
	v_mul_f16_e32 v79, 0x394e, v19
	v_fma_f16 v106, v105, s18, v79
	v_fma_f16 v79, v105, s18, -v79
	v_add_f16_e32 v87, v79, v87
	v_mul_f16_sdwa v79, v19, s25 dst_sel:DWORD dst_unused:UNUSED_PAD src0_sel:WORD_1 src1_sel:DWORD
	v_pk_add_f16 v16, v16, v89
	v_fma_f16 v89, v22, s12, -v79
	v_add_f16_e32 v89, v89, v90
	v_mul_f16_e32 v90, 0x3770, v19
	v_fma_f16 v79, v22, s12, v79
	v_add_f16_e32 v88, v106, v88
	v_fma_f16 v106, v105, s12, v90
	v_add_f16_e32 v93, v79, v93
	v_fma_f16 v79, v105, s12, -v90
	v_mul_f16_sdwa v90, v19, s24 dst_sel:DWORD dst_unused:UNUSED_PAD src0_sel:WORD_1 src1_sel:DWORD
	v_add_f16_e32 v79, v79, v91
	v_fma_f16 v91, v22, s14, -v90
	v_add_f16_e32 v91, v91, v94
	v_mul_f16_e32 v94, 0xbbf1, v19
	v_add_f16_e32 v92, v106, v92
	v_fma_f16 v106, v105, s14, v94
	v_fma_f16 v94, v105, s14, -v94
	s_movk_i32 s28, 0x33a8
	v_fma_f16 v90, v22, s14, v90
	v_add_f16_e32 v94, v94, v95
	v_mul_f16_sdwa v95, v19, s28 dst_sel:DWORD dst_unused:UNUSED_PAD src0_sel:WORD_1 src1_sel:DWORD
	v_add_f16_e32 v90, v90, v97
	v_fma_f16 v97, v22, s20, -v95
	v_add_f16_e32 v97, v97, v98
	v_mul_f16_e32 v98, 0x33a8, v19
	v_add_f16_e32 v96, v106, v96
	v_fma_f16 v106, v105, s20, v98
	v_fma_f16 v98, v105, s20, -v98
	v_add_f16_e32 v86, v98, v86
	v_pk_add_f16 v98, v18, v17
	v_pk_add_f16 v17, v17, v18 neg_lo:[0,1] neg_hi:[0,1]
	v_fma_f16 v95, v22, s20, v95
	v_mul_f16_sdwa v18, v17, s17 dst_sel:DWORD dst_unused:UNUSED_PAD src0_sel:WORD_1 src1_sel:DWORD
	v_add_f16_e32 v95, v95, v101
	v_fma_f16 v101, v98, s18, -v18
	v_fma_f16 v18, v98, s18, v18
	s_mov_b32 s0, 0xb9fd2fb7
	v_add_f16_e32 v18, v18, v83
	v_pk_mul_f16 v83, v98, s0
	s_mov_b32 s0, 0x3bf1b94e
	v_add_f16_e32 v101, v101, v103
	v_pk_fma_f16 v103, v17, s0, v83 op_sel:[0,0,1] op_sel_hi:[1,1,0] neg_lo:[1,0,0] neg_hi:[1,0,0]
	v_pk_fma_f16 v83, v17, s0, v83 op_sel:[0,0,1] op_sel_hi:[1,1,0]
	v_bfi_b32 v105, s21, v83, v103
	v_add_f16_e32 v100, v106, v100
	v_pk_add_f16 v85, v105, v85
	v_lshrrev_b32_e32 v105, 16, v98
	v_mul_f16_e32 v106, 0x3bf1, v17
	v_fma_f16 v107, v105, s14, v106
	v_fma_f16 v106, v105, s14, -v106
	v_add_f16_e32 v87, v106, v87
	v_mul_f16_sdwa v106, v17, s22 dst_sel:DWORD dst_unused:UNUSED_PAD src0_sel:WORD_1 src1_sel:DWORD
	v_add_f16_e32 v88, v107, v88
	v_fma_f16 v107, v98, s13, -v106
	v_add_f16_e32 v89, v107, v89
	v_mul_f16_e32 v107, 0xba95, v17
	v_fma_f16 v106, v98, s13, v106
	v_fma_f16 v108, v105, s13, v107
	v_add_f16_e32 v93, v106, v93
	v_fma_f16 v106, v105, s13, -v107
	v_mul_f16_sdwa v107, v17, s28 dst_sel:DWORD dst_unused:UNUSED_PAD src0_sel:WORD_1 src1_sel:DWORD
	v_add_f16_e32 v92, v108, v92
	v_fma_f16 v108, v98, s20, -v107
	v_add_f16_e32 v91, v108, v91
	v_mul_f16_e32 v108, 0x33a8, v17
	v_fma_f16 v107, v98, s20, v107
	v_add_f16_e32 v90, v107, v90
	v_fma_f16 v107, v105, s20, -v108
	v_add_f16_e32 v94, v107, v94
	v_mul_f16_sdwa v107, v17, s25 dst_sel:DWORD dst_unused:UNUSED_PAD src0_sel:WORD_1 src1_sel:DWORD
	v_fma_f16 v109, v105, s20, v108
	v_fma_f16 v108, v98, s12, -v107
	v_add_f16_e32 v97, v108, v97
	v_mul_f16_e32 v108, 0x3770, v17
	v_add_f16_e32 v96, v109, v96
	v_fma_f16 v109, v105, s12, v108
	v_fma_f16 v105, v105, s12, -v108
	v_add_f16_e32 v86, v105, v86
	v_pk_add_f16 v105, v15, v14
	v_pk_add_f16 v14, v14, v15 neg_lo:[0,1] neg_hi:[0,1]
	v_fma_f16 v107, v98, s12, v107
	v_mul_f16_sdwa v15, v14, s19 dst_sel:DWORD dst_unused:UNUSED_PAD src0_sel:WORD_1 src1_sel:DWORD
	v_add_f16_e32 v95, v107, v95
	v_fma_f16 v107, v105, s20, -v15
	v_fma_f16 v15, v105, s20, v15
	s_mov_b32 s0, 0xbbc43b15
	v_add_f16_e32 v15, v15, v18
	v_pk_mul_f16 v18, v105, s0
	s_mov_b32 s0, 0x3770b3a8
	v_add_f16_sdwa v84, v12, v84 dst_sel:DWORD dst_unused:UNUSED_PAD src0_sel:WORD_1 src1_sel:DWORD
	v_pk_fma_f16 v108, v14, s0, v18 op_sel:[0,0,1] op_sel_hi:[1,1,0] neg_lo:[1,0,0] neg_hi:[1,0,0]
	v_add_f16_e32 v84, v99, v84
	v_pk_fma_f16 v99, v14, s0, v18 op_sel:[0,0,1] op_sel_hi:[1,1,0]
	v_add_f16_e32 v84, v102, v84
	v_bfi_b32 v99, s21, v99, v108
	v_add_f16_e32 v84, v104, v84
	v_pk_add_f16 v85, v99, v85
	v_lshrrev_b32_e32 v99, 16, v105
	v_mul_f16_e32 v102, 0x3770, v14
	v_add_f16_e32 v84, v103, v84
	v_fma_f16 v103, v99, s12, v102
	v_fma_f16 v102, v99, s12, -v102
	v_add_f16_e32 v87, v102, v87
	v_mul_f16_sdwa v102, v14, s17 dst_sel:DWORD dst_unused:UNUSED_PAD src0_sel:WORD_1 src1_sel:DWORD
	v_add_f16_e32 v88, v103, v88
	v_fma_f16 v103, v105, s18, -v102
	v_add_f16_e32 v89, v103, v89
	v_mul_f16_e32 v103, 0xb9fd, v99
	v_fma_f16 v102, v105, s18, v102
	s_movk_i32 s27, 0x3a95
	v_add_f16_e32 v84, v108, v84
	v_fma_f16 v108, v14, s17, v103
	v_add_f16_e32 v93, v102, v93
	v_mul_f16_sdwa v102, v14, s27 dst_sel:DWORD dst_unused:UNUSED_PAD src0_sel:WORD_1 src1_sel:DWORD
	v_add_f16_e32 v92, v108, v92
	v_fma_f16 v108, v105, s13, -v102
	v_add_f16_e32 v91, v108, v91
	v_mul_f16_e32 v108, 0x3a95, v14
	v_fma_f16 v102, v105, s13, v102
	v_add_f16_e32 v90, v102, v90
	v_fma_f16 v102, v99, s13, -v108
	v_add_f16_e32 v94, v102, v94
	v_mul_f16_sdwa v102, v14, s15 dst_sel:DWORD dst_unused:UNUSED_PAD src0_sel:WORD_1 src1_sel:DWORD
	v_add_f16_e32 v100, v109, v100
	v_fma_f16 v109, v99, s13, v108
	v_fma_f16 v108, v105, s16, -v102
	v_add_f16_e32 v101, v107, v101
	v_add_f16_e32 v97, v108, v97
	v_mul_f16_e32 v108, 0xbb7b, v14
	v_add_f16_e32 v96, v109, v96
	v_fma_f16 v109, v99, s16, v108
	v_alignbit_b32 v88, v88, v85, 16
	v_pack_b32_f16 v85, v101, v85
	s_waitcnt lgkmcnt(0)
	; wave barrier
	v_add_f16_e32 v100, v109, v100
	ds_write2_b32 v82, v85, v88 offset0:1 offset1:2
	v_pack_b32_f16 v85, v91, v96
	v_pack_b32_f16 v88, v89, v92
	ds_write2_b32 v82, v88, v85 offset0:3 offset1:4
	v_pack_b32_f16 v85, v97, v100
	v_pk_mul_f16 v60, v60, s20 op_sel_hi:[1,0]
	ds_write2_b32 v82, v62, v85 offset1:5
	v_pk_fma_f16 v62, v13, s19, v60 op_sel:[0,0,1] op_sel_hi:[1,0,0] neg_lo:[1,0,0] neg_hi:[1,0,0]
	v_pk_fma_f16 v13, v13, s19, v60 op_sel:[0,0,1] op_sel_hi:[1,0,0]
	v_pk_add_f16 v62, v12, v62 op_sel:[1,0] op_sel_hi:[0,1]
	v_pk_add_f16 v12, v12, v13 op_sel:[1,0] op_sel_hi:[0,1]
	v_pk_mul_f16 v13, v61, s12 op_sel_hi:[1,0]
	v_pk_fma_f16 v60, v20, s25, v13 op_sel:[0,0,1] op_sel_hi:[1,0,0] neg_lo:[1,0,0] neg_hi:[1,0,0]
	v_pk_fma_f16 v13, v20, s25, v13 op_sel:[0,0,1] op_sel_hi:[1,0,0]
	v_pk_add_f16 v12, v13, v12
	v_pk_mul_f16 v13, v23, s18 op_sel_hi:[1,0]
	v_pk_fma_f16 v20, v21, s17, v13 op_sel:[0,0,1] op_sel_hi:[1,0,0] neg_lo:[1,0,0] neg_hi:[1,0,0]
	v_pk_fma_f16 v13, v21, s17, v13 op_sel:[0,0,1] op_sel_hi:[1,0,0]
	v_pk_add_f16 v12, v13, v12
	;; [unrolled: 4-line block ×3, first 2 shown]
	v_pk_add_f16 v12, v13, v12
	v_pk_mul_f16 v13, v98, s16 op_sel_hi:[1,0]
	v_pk_add_f16 v20, v20, v60
	v_pk_fma_f16 v19, v17, s15, v13 op_sel:[0,0,1] op_sel_hi:[1,0,0] neg_lo:[1,0,0] neg_hi:[1,0,0]
	v_pk_fma_f16 v13, v17, s15, v13 op_sel:[0,0,1] op_sel_hi:[1,0,0]
	v_pk_add_f16 v20, v21, v20
	v_pk_add_f16 v12, v13, v12
	v_pk_mul_f16 v13, v105, s14 op_sel_hi:[1,0]
	v_pk_add_f16 v19, v19, v20
	v_pk_fma_f16 v17, v14, s23, v13 op_sel:[0,0,1] op_sel_hi:[1,0,0] neg_lo:[1,0,0] neg_hi:[1,0,0]
	v_pk_fma_f16 v13, v14, s23, v13 op_sel:[0,0,1] op_sel_hi:[1,0,0]
	v_fma_f16 v102, v105, s16, v102
	v_fma_f16 v99, v99, s16, -v108
	v_pk_add_f16 v17, v17, v19
	v_pk_add_f16 v12, v13, v12
	v_add_f16_e32 v95, v102, v95
	v_add_f16_e32 v86, v99, v86
	v_alignbit_b32 v13, v17, v12, 16
	v_alignbit_b32 v12, v12, v17, 16
	v_pk_mul_f16 v107, v14, s0
	ds_write2_b32 v82, v12, v13 offset0:6 offset1:7
	v_pack_b32_f16 v12, v90, v94
	v_pack_b32_f16 v13, v95, v86
	v_mul_f16_e32 v104, 0xb94e, v14
	ds_write2_b32 v82, v13, v12 offset0:8 offset1:9
	v_pack_b32_f16 v12, v106, v18
	v_bfi_b32 v13, s21, v79, v107
	v_pk_add_f16 v12, v12, v13
	v_bfi_b32 v13, s21, v104, v16
	v_pk_add_f16 v13, v103, v13 neg_lo:[0,1] neg_hi:[0,1]
	v_pk_add_f16 v14, v83, v16
	v_bfi_b32 v13, s21, v13, v14
	v_pk_add_f16 v12, v13, v12
	v_alignbit_b32 v13, v87, v12, 16
	v_pack_b32_f16 v12, v93, v12
	ds_write2_b32 v82, v12, v13 offset0:10 offset1:11
	v_pack_b32_f16 v12, v15, v84
	v_mul_u32_u24_e32 v83, 13, v24
	ds_write_b32 v82, v12 offset:48
	s_and_saveexec_b64 s[0:1], vcc
	s_cbranch_execz .LBB0_7
; %bb.6:
	v_mul_f16_e32 v61, 0xb94e, v26
	v_fma_f16 v62, v41, s18, v61
	v_mul_f16_e32 v79, 0x3bf1, v27
	v_add_f16_sdwa v62, v62, v6 dst_sel:DWORD dst_unused:UNUSED_PAD src0_sel:DWORD src1_sel:WORD_1
	v_fma_f16 v84, v42, s14, v79
	v_add_f16_e32 v62, v84, v62
	v_mul_f16_e32 v84, 0xba95, v30
	v_fma_f16 v85, v43, s13, v84
	v_add_f16_e32 v62, v85, v62
	v_mul_f16_e32 v85, 0x33a8, v32
	;; [unrolled: 3-line block ×4, first 2 shown]
	v_fma_f16 v88, v50, s16, v87
	v_add_f16_e32 v62, v88, v62
	v_mul_f16_sdwa v88, v26, s17 dst_sel:DWORD dst_unused:UNUSED_PAD src0_sel:WORD_1 src1_sel:DWORD
	v_fma_f16 v89, v28, s18, -v88
	v_mul_f16_sdwa v90, v27, s23 dst_sel:DWORD dst_unused:UNUSED_PAD src0_sel:WORD_1 src1_sel:DWORD
	v_add_f16_e32 v89, v89, v6
	v_fma_f16 v91, v29, s14, -v90
	v_add_f16_e32 v89, v91, v89
	v_mul_f16_sdwa v91, v30, s22 dst_sel:DWORD dst_unused:UNUSED_PAD src0_sel:WORD_1 src1_sel:DWORD
	v_fma_f16 v92, v31, s13, -v91
	v_add_f16_e32 v89, v92, v89
	v_mul_f16_sdwa v92, v32, s28 dst_sel:DWORD dst_unused:UNUSED_PAD src0_sel:WORD_1 src1_sel:DWORD
	;; [unrolled: 3-line block ×4, first 2 shown]
	v_fma_f16 v95, v40, s16, -v94
	v_add_f16_e32 v89, v95, v89
	v_mul_f16_e32 v95, 0xbb7b, v26
	v_fma_f16 v96, v41, s16, v95
	v_mul_f16_e32 v97, 0x394e, v27
	v_add_f16_sdwa v96, v96, v6 dst_sel:DWORD dst_unused:UNUSED_PAD src0_sel:DWORD src1_sel:WORD_1
	v_fma_f16 v98, v42, s18, v97
	v_add_f16_e32 v96, v98, v96
	v_mul_f16_e32 v98, 0x3770, v30
	v_fma_f16 v99, v43, s12, v98
	v_add_f16_e32 v96, v99, v96
	v_mul_f16_e32 v99, 0xbbf1, v32
	;; [unrolled: 3-line block ×3, first 2 shown]
	v_mul_f16_e32 v13, 0x3b15, v28
	v_fma_f16 v101, v47, s20, v100
	v_mul_f16_e32 v102, 0x388b, v50
	v_mul_f16_e32 v14, 0x3b15, v41
	v_mul_f16_e32 v15, 0x388b, v29
	v_add_f16_e32 v96, v101, v96
	v_fma_f16 v103, v39, s27, v102
	v_sub_f16_e32 v13, v13, v45
	v_mul_f16_e32 v16, 0x388b, v42
	v_mul_f16_e32 v17, 0x2fb7, v31
	v_add_f16_e32 v96, v103, v96
	v_mul_f16_sdwa v103, v26, s15 dst_sel:DWORD dst_unused:UNUSED_PAD src0_sel:WORD_1 src1_sel:DWORD
	v_add_f16_e32 v14, v46, v14
	v_add_f16_e32 v13, v13, v6
	v_sub_f16_e32 v15, v15, v48
	v_mul_f16_e32 v18, 0x2fb7, v43
	v_mul_f16_e32 v19, 0xb5ac, v33
	v_fma_f16 v104, v28, s16, -v103
	v_mul_f16_sdwa v105, v27, s26 dst_sel:DWORD dst_unused:UNUSED_PAD src0_sel:WORD_1 src1_sel:DWORD
	v_add_f16_sdwa v14, v14, v6 dst_sel:DWORD dst_unused:UNUSED_PAD src0_sel:DWORD src1_sel:WORD_1
	v_add_f16_e32 v16, v49, v16
	v_add_f16_e32 v13, v15, v13
	v_sub_f16_e32 v15, v17, v52
	v_mul_f16_e32 v20, 0xb5ac, v44
	v_mul_f16_e32 v21, 0xb9fd, v35
	v_add_f16_e32 v104, v104, v6
	v_fma_f16 v106, v29, s18, -v105
	v_add_f16_e32 v14, v16, v14
	v_add_f16_e32 v16, v53, v18
	;; [unrolled: 1-line block ×3, first 2 shown]
	v_sub_f16_e32 v15, v19, v54
	v_mul_f16_e32 v22, 0xb9fd, v47
	v_mul_f16_e32 v23, 0xbbc4, v40
	v_add_f16_e32 v104, v106, v104
	v_mul_f16_sdwa v106, v30, s25 dst_sel:DWORD dst_unused:UNUSED_PAD src0_sel:WORD_1 src1_sel:DWORD
	v_add_f16_e32 v14, v16, v14
	v_add_f16_e32 v16, v55, v20
	;; [unrolled: 1-line block ×3, first 2 shown]
	v_sub_f16_e32 v15, v21, v56
	v_mul_f16_e32 v60, 0xbbc4, v50
	v_fma_f16 v107, v31, s12, -v106
	v_add_f16_e32 v14, v16, v14
	v_add_f16_e32 v16, v57, v22
	;; [unrolled: 1-line block ×3, first 2 shown]
	v_sub_f16_e32 v15, v23, v58
	v_add_f16_e32 v104, v107, v104
	v_mul_f16_sdwa v107, v32, s24 dst_sel:DWORD dst_unused:UNUSED_PAD src0_sel:WORD_1 src1_sel:DWORD
	v_add_f16_e32 v14, v16, v14
	v_add_f16_e32 v16, v59, v60
	v_add_f16_e32 v13, v15, v13
	v_fma_f16 v15, v41, s18, -v61
	v_fma_f16 v108, v33, s14, -v107
	v_add_f16_e32 v14, v16, v14
	v_add_f16_sdwa v15, v15, v6 dst_sel:DWORD dst_unused:UNUSED_PAD src0_sel:DWORD src1_sel:WORD_1
	v_fma_f16 v16, v42, s14, -v79
	v_add_f16_e32 v104, v108, v104
	v_mul_f16_sdwa v108, v34, s28 dst_sel:DWORD dst_unused:UNUSED_PAD src0_sel:WORD_1 src1_sel:DWORD
	v_add_f16_e32 v15, v16, v15
	v_fma_f16 v16, v43, s13, -v84
	v_fma_f16 v109, v35, s20, -v108
	v_add_f16_e32 v15, v16, v15
	v_fma_f16 v16, v44, s20, -v85
	v_add_f16_e32 v104, v109, v104
	v_mul_f16_sdwa v109, v39, s27 dst_sel:DWORD dst_unused:UNUSED_PAD src0_sel:WORD_1 src1_sel:DWORD
	v_add_f16_e32 v15, v16, v15
	v_fma_f16 v16, v47, s12, -v86
	v_fma_f16 v110, v40, s13, -v109
	v_add_f16_e32 v15, v16, v15
	v_fma_f16 v16, v50, s16, -v87
	v_alignbit_b32 v12, v6, v6, 16
	v_add_f16_e32 v104, v110, v104
	v_mul_f16_e32 v110, 0xbbf1, v26
	v_add_f16_e32 v15, v16, v15
	v_fma_f16 v16, v28, s18, v88
	v_fma_f16 v19, v28, s16, v103
	;; [unrolled: 1-line block ×3, first 2 shown]
	v_mul_f16_e32 v112, 0xb3a8, v27
	v_mul_f16_sdwa v124, v26, s22 dst_sel:DWORD dst_unused:UNUSED_PAD src0_sel:WORD_1 src1_sel:DWORD
	v_pk_add_f16 v7, v7, v12 op_sel:[0,1] op_sel_hi:[1,0]
	v_add_f16_e32 v16, v16, v6
	v_fma_f16 v17, v29, s14, v90
	v_add_f16_e32 v19, v19, v6
	v_fma_f16 v20, v29, s18, v105
	v_add_f16_sdwa v111, v111, v6 dst_sel:DWORD dst_unused:UNUSED_PAD src0_sel:DWORD src1_sel:WORD_1
	v_fma_f16 v113, v42, s20, v112
	v_fma_f16 v125, v28, s13, -v124
	v_mul_f16_sdwa v126, v27, s15 dst_sel:DWORD dst_unused:UNUSED_PAD src0_sel:WORD_1 src1_sel:DWORD
	v_add_f16_e32 v16, v17, v16
	v_fma_f16 v17, v31, s13, v91
	v_add_f16_e32 v19, v20, v19
	v_fma_f16 v20, v31, s12, v106
	v_pk_add_f16 v7, v10, v7
	v_add_f16_e32 v111, v113, v111
	v_mul_f16_e32 v113, 0x3b7b, v30
	v_add_f16_e32 v125, v125, v6
	v_fma_f16 v127, v29, s16, -v126
	v_add_f16_e32 v16, v17, v16
	v_fma_f16 v17, v33, s20, v92
	v_add_f16_e32 v19, v20, v19
	v_fma_f16 v20, v33, s14, v107
	v_pk_add_f16 v7, v11, v7
	v_fma_f16 v114, v43, s16, v113
	v_add_f16_e32 v125, v127, v125
	v_mul_f16_sdwa v127, v30, s19 dst_sel:DWORD dst_unused:UNUSED_PAD src0_sel:WORD_1 src1_sel:DWORD
	v_add_f16_e32 v16, v17, v16
	v_fma_f16 v17, v35, s12, v93
	v_add_f16_e32 v19, v20, v19
	v_fma_f16 v20, v35, s20, v108
	v_pk_add_f16 v7, v8, v7
	v_add_f16_e32 v111, v114, v111
	v_mul_f16_e32 v114, 0x3770, v32
	v_fma_f16 v128, v31, s20, -v127
	v_add_f16_e32 v16, v17, v16
	v_fma_f16 v17, v40, s16, v94
	v_add_f16_e32 v19, v20, v19
	v_fma_f16 v20, v40, s13, v109
	v_pk_add_f16 v7, v9, v7
	v_fma_f16 v115, v44, s12, v114
	v_add_f16_e32 v125, v128, v125
	v_mul_f16_sdwa v128, v32, s26 dst_sel:DWORD dst_unused:UNUSED_PAD src0_sel:WORD_1 src1_sel:DWORD
	v_add_f16_e32 v16, v17, v16
	v_fma_f16 v17, v41, s16, -v95
	v_add_f16_e32 v19, v20, v19
	v_fma_f16 v20, v41, s14, -v110
	v_fma_f16 v52, v28, s13, v124
	v_pk_add_f16 v4, v4, v7
	v_add_f16_e32 v111, v115, v111
	v_mul_f16_e32 v115, 0xba95, v34
	v_fma_f16 v129, v33, s18, -v128
	v_add_f16_sdwa v17, v17, v6 dst_sel:DWORD dst_unused:UNUSED_PAD src0_sel:DWORD src1_sel:WORD_1
	v_add_f16_sdwa v20, v20, v6 dst_sel:DWORD dst_unused:UNUSED_PAD src0_sel:DWORD src1_sel:WORD_1
	v_fma_f16 v21, v42, s20, -v112
	v_add_f16_e32 v6, v52, v6
	v_fma_f16 v52, v29, s16, v126
	v_pk_add_f16 v4, v5, v4
	v_fma_f16 v116, v47, s13, v115
	v_add_f16_e32 v125, v129, v125
	v_mul_f16_sdwa v129, v34, s23 dst_sel:DWORD dst_unused:UNUSED_PAD src0_sel:WORD_1 src1_sel:DWORD
	v_add_f16_e32 v20, v21, v20
	v_fma_f16 v21, v43, s16, -v113
	v_add_f16_e32 v6, v52, v6
	v_fma_f16 v52, v31, s20, v127
	v_pk_add_f16 v0, v0, v4
	v_add_f16_e32 v111, v116, v111
	v_mul_f16_e32 v116, 0xb94e, v39
	v_fma_f16 v130, v35, s14, -v129
	v_add_f16_e32 v20, v21, v20
	v_fma_f16 v21, v44, s12, -v114
	v_add_f16_e32 v6, v52, v6
	v_fma_f16 v52, v33, s18, v128
	v_pk_add_f16 v0, v1, v0
	v_fma_f16 v117, v50, s18, v116
	s_mov_b32 s24, 0x388b2fb7
	v_add_f16_e32 v125, v130, v125
	v_mul_f16_sdwa v130, v39, s25 dst_sel:DWORD dst_unused:UNUSED_PAD src0_sel:WORD_1 src1_sel:DWORD
	v_fma_f16 v18, v42, s18, -v97
	v_add_f16_e32 v20, v21, v20
	v_fma_f16 v21, v47, s13, -v115
	v_add_f16_e32 v6, v52, v6
	v_fma_f16 v52, v35, s14, v129
	v_pk_add_f16 v0, v2, v0
	v_add_f16_e32 v111, v117, v111
	v_pk_mul_f16 v117, v28, s24
	s_mov_b32 s24, 0xbbf1ba95
	s_mov_b32 s28, 0xb5acbbc4
	v_add_f16_e32 v17, v18, v17
	v_fma_f16 v18, v43, s12, -v98
	v_add_f16_e32 v20, v21, v20
	v_fma_f16 v21, v50, s18, -v116
	v_add_f16_e32 v6, v52, v6
	v_fma_f16 v52, v40, s12, v130
	v_pk_add_f16 v0, v3, v0
	v_pk_mul_f16 v118, v29, s28
	s_mov_b32 s28, 0xb3a8bb7b
	s_mov_b32 s29, 0xbbc4b5ac
	v_add_f16_e32 v17, v18, v17
	v_fma_f16 v18, v44, s14, -v99
	v_add_f16_e32 v20, v21, v20
	v_pk_fma_f16 v21, v26, s24, v117 op_sel:[0,0,1] op_sel_hi:[1,1,0]
	v_pk_fma_f16 v44, v26, s24, v117 op_sel:[0,0,1] op_sel_hi:[1,1,0] neg_lo:[1,0,0] neg_hi:[1,0,0]
	v_add_f16_e32 v6, v52, v6
	v_lshl_add_u32 v52, v83, 2, v78
	v_pk_add_f16 v0, v25, v0
	v_pack_b32_f16 v1, v13, v14
	v_pk_mul_f16 v119, v31, s29
	s_mov_b32 s29, 0x3b7bb3a8
	s_mov_b32 s30, 0xb9fd3b15
	v_pk_fma_f16 v23, v27, s28, v118 op_sel:[0,0,1] op_sel_hi:[1,1,0]
	v_pk_fma_f16 v45, v27, s28, v118 op_sel:[0,0,1] op_sel_hi:[1,1,0] neg_lo:[1,0,0] neg_hi:[1,0,0]
	ds_write2_b32 v52, v0, v1 offset1:1
	v_bfi_b32 v0, s21, v21, v44
	v_pk_mul_f16 v120, v33, s30
	s_mov_b32 s30, 0x3770394e
	s_mov_b32 s31, 0x2fb7388b
	v_pk_fma_f16 v41, v30, s29, v119 op_sel:[0,0,1] op_sel_hi:[1,1,0]
	v_pk_fma_f16 v46, v30, s29, v119 op_sel:[0,0,1] op_sel_hi:[1,1,0] neg_lo:[1,0,0] neg_hi:[1,0,0]
	v_pk_add_f16 v0, v0, v12
	v_bfi_b32 v1, s21, v23, v45
	v_pk_mul_f16 v121, v35, s31
	s_mov_b32 s31, 0xba953bf1
	v_add_f16_e32 v17, v18, v17
	v_fma_f16 v18, v47, s20, -v100
	v_pk_fma_f16 v42, v32, s30, v120 op_sel:[0,0,1] op_sel_hi:[1,1,0]
	v_pk_fma_f16 v47, v32, s30, v120 op_sel:[0,0,1] op_sel_hi:[1,1,0] neg_lo:[1,0,0] neg_hi:[1,0,0]
	v_pk_add_f16 v0, v1, v0
	v_bfi_b32 v1, s21, v41, v46
	s_mov_b32 s33, 0x3b15b9fd
	v_pk_fma_f16 v43, v34, s31, v121 op_sel:[0,0,1] op_sel_hi:[1,1,0]
	v_pk_fma_f16 v48, v34, s31, v121 op_sel:[0,0,1] op_sel_hi:[1,1,0] neg_lo:[1,0,0] neg_hi:[1,0,0]
	v_pk_add_f16 v0, v1, v0
	v_bfi_b32 v1, s21, v42, v47
	v_pk_mul_f16 v122, v40, s33
	s_mov_b32 s33, 0xb94e3770
	v_pk_add_f16 v0, v1, v0
	v_bfi_b32 v1, s21, v43, v48
	v_pk_fma_f16 v49, v39, s33, v122 op_sel:[0,0,1] op_sel_hi:[1,1,0] neg_lo:[1,0,0] neg_hi:[1,0,0]
	v_pk_add_f16 v0, v1, v0
	v_pk_fma_f16 v1, v39, s33, v122 op_sel:[0,0,1] op_sel_hi:[1,1,0]
	v_fma_f16 v131, v40, s12, -v130
	v_bfi_b32 v1, s21, v1, v49
	v_add_f16_e32 v125, v131, v125
	v_pk_add_f16 v0, v1, v0
	v_alignbit_b32 v1, v111, v0, 16
	v_pack_b32_f16 v0, v125, v0
	ds_write2_b32 v52, v0, v1 offset0:2 offset1:3
	v_pack_b32_f16 v0, v89, v62
	v_pack_b32_f16 v1, v104, v96
	ds_write2_b32 v52, v1, v0 offset0:4 offset1:5
	v_pk_mul_f16 v0, v28, s20 op_sel_hi:[1,0]
	v_pk_fma_f16 v1, v26, s19, v0 op_sel:[0,0,1] op_sel_hi:[1,0,0] neg_lo:[1,0,0] neg_hi:[1,0,0]
	v_pk_mul_f16 v2, v29, s12 op_sel_hi:[1,0]
	v_pk_add_f16 v1, v1, v12
	v_pk_fma_f16 v3, v27, s25, v2 op_sel:[0,0,1] op_sel_hi:[1,0,0] neg_lo:[1,0,0] neg_hi:[1,0,0]
	v_pk_add_f16 v1, v3, v1
	v_pk_mul_f16 v3, v31, s18 op_sel_hi:[1,0]
	v_pk_fma_f16 v4, v30, s17, v3 op_sel:[0,0,1] op_sel_hi:[1,0,0] neg_lo:[1,0,0] neg_hi:[1,0,0]
	v_pk_add_f16 v1, v4, v1
	v_pk_mul_f16 v4, v33, s13 op_sel_hi:[1,0]
	v_pk_fma_f16 v0, v26, s19, v0 op_sel:[0,0,1] op_sel_hi:[1,0,0]
	v_pk_fma_f16 v5, v32, s27, v4 op_sel:[0,0,1] op_sel_hi:[1,0,0] neg_lo:[1,0,0] neg_hi:[1,0,0]
	v_pk_add_f16 v0, v0, v12
	v_pk_fma_f16 v2, v27, s25, v2 op_sel:[0,0,1] op_sel_hi:[1,0,0]
	v_pk_add_f16 v1, v5, v1
	v_pk_mul_f16 v5, v35, s16 op_sel_hi:[1,0]
	v_pk_add_f16 v0, v2, v0
	v_pk_fma_f16 v2, v30, s17, v3 op_sel:[0,0,1] op_sel_hi:[1,0,0]
	v_pk_fma_f16 v7, v34, s15, v5 op_sel:[0,0,1] op_sel_hi:[1,0,0] neg_lo:[1,0,0] neg_hi:[1,0,0]
	v_pk_add_f16 v0, v2, v0
	v_pk_fma_f16 v2, v32, s27, v4 op_sel:[0,0,1] op_sel_hi:[1,0,0]
	v_pk_add_f16 v1, v7, v1
	v_pk_mul_f16 v7, v40, s14 op_sel_hi:[1,0]
	v_pk_add_f16 v0, v2, v0
	v_pk_fma_f16 v2, v34, s15, v5 op_sel:[0,0,1] op_sel_hi:[1,0,0]
	v_pk_add_f16 v22, v21, v12
	v_pk_fma_f16 v8, v39, s23, v7 op_sel:[0,0,1] op_sel_hi:[1,0,0] neg_lo:[1,0,0] neg_hi:[1,0,0]
	v_pk_add_f16 v0, v2, v0
	v_pk_fma_f16 v2, v39, s23, v7 op_sel:[0,0,1] op_sel_hi:[1,0,0]
	v_pk_add_f16 v22, v23, v22
	v_pk_add_f16 v1, v8, v1
	v_pk_add_f16 v0, v2, v0
	v_pk_add_f16 v22, v41, v22
	v_alignbit_b32 v2, v1, v0, 16
	v_alignbit_b32 v0, v0, v1, 16
	v_mul_f16_e32 v101, 0x3a95, v39
	v_pk_add_f16 v22, v42, v22
	ds_write2_b32 v52, v0, v2 offset0:6 offset1:7
	v_pack_b32_f16 v0, v16, v15
	v_add_f16_e32 v50, v44, v12
	ds_write_b32 v52, v0 offset:32
	v_bfi_b32 v0, s21, v101, v22
	v_pk_mul_f16 v123, v39, s33
	v_add_f16_e32 v50, v45, v50
	v_pk_add_f16 v0, v102, v0 neg_lo:[0,1] neg_hi:[0,1]
	v_pk_add_f16 v1, v43, v22
	v_add_f16_e32 v50, v46, v50
	v_bfi_b32 v0, s21, v0, v1
	v_pack_b32_f16 v1, v18, v122
	v_bfi_b32 v2, s21, v17, v123
	v_add_f16_e32 v50, v47, v50
	v_pk_add_f16 v1, v1, v2
	v_add_f16_e32 v50, v48, v50
	v_pk_add_f16 v0, v0, v1
	v_add_f16_e32 v50, v49, v50
	v_alignbit_b32 v1, v20, v0, 16
	v_pack_b32_f16 v0, v19, v0
	s_mov_b32 s12, 0x5040100
	ds_write2_b32 v52, v0, v1 offset0:9 offset1:10
	v_pack_b32_f16 v0, v6, v50
	v_perm_b32 v1, v80, v81, s12
	ds_write2_b32 v52, v0, v1 offset0:11 offset1:12
.LBB0_7:
	s_or_b64 exec, exec, s[0:1]
	v_lshlrev_b32_e32 v16, 4, v63
	s_waitcnt lgkmcnt(0)
	; wave barrier
	s_waitcnt lgkmcnt(0)
	global_load_dwordx4 v[0:3], v16, s[4:5]
	v_add_co_u32_e64 v25, s[0:1], 26, v63
	s_movk_i32 s12, 0x4f
	v_mul_lo_u16_sdwa v4, v25, s12 dst_sel:DWORD dst_unused:UNUSED_PAD src0_sel:BYTE_0 src1_sel:DWORD
	v_lshrrev_b16_e32 v4, 10, v4
	v_mul_lo_u16_e32 v4, 13, v4
	v_sub_u16_e32 v23, v25, v4
	v_lshlrev_b16_e32 v4, 2, v23
	v_and_b32_e32 v4, 0xfc, v4
	v_lshlrev_b32_e32 v4, 2, v4
	ds_read2_b32 v[17:18], v64 offset1:13
	ds_read2_b32 v[19:20], v64 offset0:52 offset1:65
	ds_read2_b32 v[21:22], v64 offset0:130 offset1:143
	;; [unrolled: 1-line block ×7, first 2 shown]
	v_add_co_u32_e64 v28, s[0:1], 39, v63
	global_load_dwordx4 v[4:7], v4, s[4:5]
	v_mul_lo_u16_sdwa v8, v28, s12 dst_sel:DWORD dst_unused:UNUSED_PAD src0_sel:BYTE_0 src1_sel:DWORD
	v_lshrrev_b16_e32 v8, 10, v8
	v_mul_lo_u16_e32 v8, 13, v8
	v_sub_u16_e32 v35, v28, v8
	v_lshlrev_b16_e32 v8, 2, v35
	v_add_co_u32_e64 v32, s[0:1], 52, v63
	v_and_b32_e32 v8, 0xfc, v8
	v_mul_lo_u16_sdwa v9, v32, s12 dst_sel:DWORD dst_unused:UNUSED_PAD src0_sel:BYTE_0 src1_sel:DWORD
	v_lshlrev_b32_e32 v8, 2, v8
	v_add_u32_e32 v52, 0x400, v64
	ds_read2_b32 v[43:44], v64 offset0:104 offset1:117
	ds_read2_b32 v[45:46], v64 offset0:234 offset1:247
	ds_read_b32 v31, v64 offset:1248
	ds_read2_b32 v[47:48], v52 offset0:4 offset1:17
	ds_read2_b32 v[49:50], v52 offset0:30 offset1:43
	v_lshrrev_b16_e32 v12, 10, v9
	global_load_dwordx4 v[8:11], v8, s[4:5]
	v_mul_lo_u16_e32 v12, 13, v12
	v_sub_u16_e32 v53, v32, v12
	v_lshlrev_b16_e32 v12, 2, v53
	v_and_b32_e32 v12, 0xfc, v12
	v_lshlrev_b32_e32 v12, 2, v12
	global_load_dwordx4 v[12:15], v12, s[4:5]
	s_waitcnt lgkmcnt(11)
	v_lshrrev_b32_e32 v55, 16, v20
	s_waitcnt lgkmcnt(9)
	v_lshrrev_b32_e32 v57, 16, v27
	;; [unrolled: 2-line block ×3, first 2 shown]
	v_lshrrev_b32_e32 v59, 16, v29
	v_lshrrev_b32_e32 v60, 16, v22
	;; [unrolled: 1-line block ×7, first 2 shown]
	s_waitcnt lgkmcnt(0)
	v_lshrrev_b32_e32 v97, 16, v49
	v_lshrrev_b32_e32 v87, 16, v43
	;; [unrolled: 1-line block ×9, first 2 shown]
	s_movk_i32 s1, 0x3b9c
	s_mov_b32 s13, 0xbb9c
	v_lshrrev_b32_e32 v94, 16, v31
	s_movk_i32 s0, 0x38b4
	s_mov_b32 s14, 0xb8b4
	s_movk_i32 s12, 0x34f2
	v_lshrrev_b32_e32 v54, 16, v17
	v_lshrrev_b32_e32 v58, 16, v18
	;; [unrolled: 1-line block ×5, first 2 shown]
	s_waitcnt lgkmcnt(0)
	; wave barrier
	v_lshlrev_b32_e32 v28, 4, v28
	v_lshlrev_b32_e32 v32, 4, v32
	s_waitcnt vmcnt(3)
	v_mul_f16_sdwa v99, v55, v0 dst_sel:DWORD dst_unused:UNUSED_PAD src0_sel:DWORD src1_sel:WORD_1
	v_mul_f16_sdwa v103, v57, v2 dst_sel:DWORD dst_unused:UNUSED_PAD src0_sel:DWORD src1_sel:WORD_1
	;; [unrolled: 1-line block ×3, first 2 shown]
	v_fma_f16 v20, v20, v0, -v99
	v_fma_f16 v99, v27, v2, -v103
	v_mul_f16_sdwa v27, v27, v2 dst_sel:DWORD dst_unused:UNUSED_PAD src0_sel:DWORD src1_sel:WORD_1
	v_fma_f16 v27, v57, v2, v27
	v_mul_f16_sdwa v57, v95, v3 dst_sel:DWORD dst_unused:UNUSED_PAD src0_sel:DWORD src1_sel:WORD_1
	v_fma_f16 v57, v47, v3, -v57
	v_mul_f16_sdwa v47, v47, v3 dst_sel:DWORD dst_unused:UNUSED_PAD src0_sel:DWORD src1_sel:WORD_1
	v_fma_f16 v47, v95, v3, v47
	v_mul_f16_sdwa v95, v59, v0 dst_sel:DWORD dst_unused:UNUSED_PAD src0_sel:DWORD src1_sel:WORD_1
	;; [unrolled: 4-line block ×5, first 2 shown]
	v_fma_f16 v61, v48, v3, -v61
	v_mul_f16_sdwa v48, v48, v3 dst_sel:DWORD dst_unused:UNUSED_PAD src0_sel:DWORD src1_sel:WORD_1
	v_fma_f16 v48, v96, v3, v48
	s_waitcnt vmcnt(2)
	v_mul_f16_sdwa v96, v79, v4 dst_sel:DWORD dst_unused:UNUSED_PAD src0_sel:DWORD src1_sel:WORD_1
	v_fma_f16 v96, v30, v4, -v96
	v_mul_f16_sdwa v30, v30, v4 dst_sel:DWORD dst_unused:UNUSED_PAD src0_sel:DWORD src1_sel:WORD_1
	v_fma_f16 v30, v79, v4, v30
	v_mul_f16_sdwa v79, v84, v5 dst_sel:DWORD dst_unused:UNUSED_PAD src0_sel:DWORD src1_sel:WORD_1
	v_fma_f16 v79, v41, v5, -v79
	v_mul_f16_sdwa v41, v41, v5 dst_sel:DWORD dst_unused:UNUSED_PAD src0_sel:DWORD src1_sel:WORD_1
	v_fma_f16 v41, v84, v5, v41
	;; [unrolled: 4-line block ×4, first 2 shown]
	s_waitcnt vmcnt(1)
	v_mul_f16_sdwa v97, v87, v8 dst_sel:DWORD dst_unused:UNUSED_PAD src0_sel:DWORD src1_sel:WORD_1
	v_fma_f16 v97, v43, v8, -v97
	v_mul_f16_sdwa v43, v43, v8 dst_sel:DWORD dst_unused:UNUSED_PAD src0_sel:DWORD src1_sel:WORD_1
	v_fma_f16 v43, v87, v8, v43
	v_mul_f16_sdwa v87, v88, v9 dst_sel:DWORD dst_unused:UNUSED_PAD src0_sel:DWORD src1_sel:WORD_1
	v_fma_f16 v87, v42, v9, -v87
	v_mul_f16_sdwa v42, v42, v9 dst_sel:DWORD dst_unused:UNUSED_PAD src0_sel:DWORD src1_sel:WORD_1
	v_fma_f16 v42, v88, v9, v42
	;; [unrolled: 4-line block ×4, first 2 shown]
	s_waitcnt vmcnt(0)
	v_mul_f16_sdwa v98, v91, v12 dst_sel:DWORD dst_unused:UNUSED_PAD src0_sel:DWORD src1_sel:WORD_1
	v_mul_f16_sdwa v101, v56, v1 dst_sel:DWORD dst_unused:UNUSED_PAD src0_sel:DWORD src1_sel:WORD_1
	v_fma_f16 v98, v44, v12, -v98
	v_mul_f16_sdwa v44, v44, v12 dst_sel:DWORD dst_unused:UNUSED_PAD src0_sel:DWORD src1_sel:WORD_1
	v_mul_f16_sdwa v102, v21, v1 dst_sel:DWORD dst_unused:UNUSED_PAD src0_sel:DWORD src1_sel:WORD_1
	v_fma_f16 v21, v21, v1, -v101
	v_fma_f16 v44, v91, v12, v44
	v_mul_f16_sdwa v91, v92, v13 dst_sel:DWORD dst_unused:UNUSED_PAD src0_sel:DWORD src1_sel:WORD_1
	v_fma_f16 v55, v55, v0, v100
	v_fma_f16 v91, v26, v13, -v91
	v_mul_f16_sdwa v26, v26, v13 dst_sel:DWORD dst_unused:UNUSED_PAD src0_sel:DWORD src1_sel:WORD_1
	v_add_f16_e32 v100, v21, v99
	v_fma_f16 v56, v56, v1, v102
	v_fma_f16 v26, v92, v13, v26
	v_mul_f16_sdwa v92, v93, v14 dst_sel:DWORD dst_unused:UNUSED_PAD src0_sel:DWORD src1_sel:WORD_1
	v_fma_f16 v100, v100, -0.5, v17
	v_sub_f16_e32 v101, v55, v47
	v_fma_f16 v92, v46, v14, -v92
	v_mul_f16_sdwa v46, v46, v14 dst_sel:DWORD dst_unused:UNUSED_PAD src0_sel:DWORD src1_sel:WORD_1
	v_fma_f16 v102, v101, s1, v100
	v_sub_f16_e32 v103, v56, v27
	v_sub_f16_e32 v104, v20, v21
	v_sub_f16_e32 v105, v57, v99
	v_fma_f16 v100, v101, s13, v100
	v_fma_f16 v46, v93, v14, v46
	v_mul_f16_sdwa v93, v94, v15 dst_sel:DWORD dst_unused:UNUSED_PAD src0_sel:DWORD src1_sel:WORD_1
	v_fma_f16 v102, v103, s0, v102
	v_add_f16_e32 v104, v104, v105
	v_fma_f16 v100, v103, s14, v100
	v_fma_f16 v93, v31, v15, -v93
	v_mul_f16_sdwa v31, v31, v15 dst_sel:DWORD dst_unused:UNUSED_PAD src0_sel:DWORD src1_sel:WORD_1
	v_fma_f16 v102, v104, s12, v102
	v_fma_f16 v100, v104, s12, v100
	v_add_f16_e32 v104, v20, v57
	v_fma_f16 v31, v94, v15, v31
	v_add_f16_e32 v94, v17, v20
	v_fma_f16 v17, v104, -0.5, v17
	v_add_f16_e32 v94, v94, v21
	v_fma_f16 v104, v103, s13, v17
	v_sub_f16_e32 v105, v21, v20
	v_sub_f16_e32 v106, v99, v57
	v_fma_f16 v17, v103, s1, v17
	v_add_f16_e32 v103, v56, v27
	v_add_f16_e32 v94, v94, v99
	v_fma_f16 v104, v101, s0, v104
	v_add_f16_e32 v105, v105, v106
	v_fma_f16 v17, v101, s14, v17
	v_fma_f16 v103, v103, -0.5, v54
	v_sub_f16_e32 v20, v20, v57
	v_add_f16_e32 v94, v94, v57
	v_fma_f16 v104, v105, s12, v104
	v_fma_f16 v17, v105, s12, v17
	;; [unrolled: 1-line block ×3, first 2 shown]
	v_sub_f16_e32 v21, v21, v99
	v_sub_f16_e32 v99, v55, v56
	;; [unrolled: 1-line block ×3, first 2 shown]
	v_fma_f16 v103, v20, s1, v103
	v_fma_f16 v57, v21, s14, v57
	v_add_f16_e32 v99, v99, v105
	v_fma_f16 v103, v21, s0, v103
	v_add_f16_e32 v101, v54, v55
	v_fma_f16 v57, v99, s12, v57
	v_fma_f16 v99, v99, s12, v103
	v_add_f16_e32 v103, v55, v47
	v_add_f16_e32 v101, v101, v56
	v_fma_f16 v54, v103, -0.5, v54
	v_add_f16_e32 v101, v101, v27
	v_fma_f16 v103, v21, s1, v54
	v_sub_f16_e32 v55, v56, v55
	v_sub_f16_e32 v27, v27, v47
	v_fma_f16 v21, v21, s13, v54
	v_fma_f16 v103, v20, s14, v103
	v_add_f16_e32 v27, v55, v27
	v_fma_f16 v20, v20, s0, v21
	v_add_f16_e32 v101, v101, v47
	v_fma_f16 v47, v27, s12, v103
	v_fma_f16 v20, v27, s12, v20
	v_add_f16_e32 v27, v59, v60
	v_fma_f16 v27, v27, -0.5, v18
	v_sub_f16_e32 v54, v29, v48
	v_fma_f16 v55, v54, s1, v27
	v_sub_f16_e32 v56, v22, v33
	v_sub_f16_e32 v103, v95, v59
	;; [unrolled: 1-line block ×3, first 2 shown]
	v_fma_f16 v27, v54, s13, v27
	v_fma_f16 v55, v56, s0, v55
	v_add_f16_e32 v103, v103, v105
	v_fma_f16 v27, v56, s14, v27
	v_add_f16_e32 v21, v18, v95
	v_fma_f16 v55, v103, s12, v55
	v_fma_f16 v27, v103, s12, v27
	v_add_f16_e32 v103, v95, v61
	v_add_f16_e32 v21, v21, v59
	v_fma_f16 v18, v103, -0.5, v18
	v_add_f16_e32 v21, v21, v60
	v_fma_f16 v103, v56, s13, v18
	v_fma_f16 v18, v56, s1, v18
	v_add_f16_e32 v56, v22, v33
	v_add_f16_e32 v21, v21, v61
	v_sub_f16_e32 v105, v59, v95
	v_sub_f16_e32 v106, v60, v61
	v_fma_f16 v56, v56, -0.5, v58
	v_sub_f16_e32 v61, v95, v61
	v_fma_f16 v103, v54, s0, v103
	v_add_f16_e32 v105, v105, v106
	v_fma_f16 v18, v54, s14, v18
	v_fma_f16 v95, v61, s13, v56
	v_sub_f16_e32 v59, v59, v60
	v_fma_f16 v103, v105, s12, v103
	v_fma_f16 v18, v105, s12, v18
	;; [unrolled: 1-line block ×3, first 2 shown]
	v_sub_f16_e32 v95, v29, v22
	v_sub_f16_e32 v105, v48, v33
	v_fma_f16 v56, v61, s1, v56
	v_add_f16_e32 v54, v58, v29
	v_add_f16_e32 v95, v95, v105
	v_fma_f16 v56, v59, s0, v56
	v_add_f16_e32 v54, v54, v22
	v_fma_f16 v60, v95, s12, v60
	v_fma_f16 v56, v95, s12, v56
	v_add_f16_e32 v95, v29, v48
	v_add_f16_e32 v54, v54, v33
	v_fma_f16 v58, v95, -0.5, v58
	v_add_f16_e32 v54, v54, v48
	v_fma_f16 v95, v59, s1, v58
	v_sub_f16_e32 v22, v22, v29
	v_sub_f16_e32 v29, v33, v48
	v_add_f16_e32 v48, v79, v84
	v_fma_f16 v95, v61, s14, v95
	v_add_f16_e32 v22, v22, v29
	v_fma_f16 v33, v59, s13, v58
	v_fma_f16 v48, v48, -0.5, v39
	v_sub_f16_e32 v58, v30, v49
	v_fma_f16 v29, v22, s12, v95
	v_fma_f16 v33, v61, s0, v33
	;; [unrolled: 1-line block ×3, first 2 shown]
	v_sub_f16_e32 v61, v41, v34
	v_sub_f16_e32 v95, v96, v79
	;; [unrolled: 1-line block ×3, first 2 shown]
	v_fma_f16 v48, v58, s13, v48
	v_fma_f16 v59, v61, s0, v59
	v_add_f16_e32 v95, v95, v105
	v_fma_f16 v48, v61, s14, v48
	v_fma_f16 v22, v22, s12, v33
	v_add_f16_e32 v33, v39, v96
	;; [unrolled: 3-line block ×3, first 2 shown]
	v_add_f16_e32 v33, v33, v79
	v_fma_f16 v39, v95, -0.5, v39
	v_add_f16_e32 v33, v33, v84
	v_fma_f16 v95, v61, s13, v39
	v_fma_f16 v39, v61, s1, v39
	v_add_f16_e32 v61, v41, v34
	v_add_f16_e32 v33, v33, v85
	v_sub_f16_e32 v105, v79, v96
	v_sub_f16_e32 v106, v84, v85
	v_fma_f16 v61, v61, -0.5, v62
	v_sub_f16_e32 v85, v96, v85
	v_fma_f16 v95, v58, s0, v95
	v_add_f16_e32 v105, v105, v106
	v_fma_f16 v39, v58, s14, v39
	v_fma_f16 v96, v85, s13, v61
	v_sub_f16_e32 v79, v79, v84
	v_fma_f16 v95, v105, s12, v95
	v_fma_f16 v39, v105, s12, v39
	;; [unrolled: 1-line block ×3, first 2 shown]
	v_sub_f16_e32 v96, v30, v41
	v_sub_f16_e32 v105, v49, v34
	v_add_f16_e32 v58, v62, v30
	v_add_f16_e32 v96, v96, v105
	;; [unrolled: 1-line block ×3, first 2 shown]
	v_fma_f16 v105, v96, s12, v84
	v_add_f16_e32 v84, v30, v49
	v_add_f16_e32 v58, v58, v34
	v_fma_f16 v62, v84, -0.5, v62
	v_add_f16_e32 v58, v58, v49
	v_fma_f16 v61, v85, s1, v61
	v_fma_f16 v84, v79, s1, v62
	v_sub_f16_e32 v30, v41, v30
	v_sub_f16_e32 v34, v34, v49
	v_add_f16_e32 v49, v87, v88
	v_fma_f16 v61, v79, s0, v61
	v_fma_f16 v84, v85, s14, v84
	v_add_f16_e32 v30, v30, v34
	v_fma_f16 v41, v79, s13, v62
	v_fma_f16 v49, v49, -0.5, v40
	v_sub_f16_e32 v62, v43, v50
	v_fma_f16 v61, v96, s12, v61
	v_fma_f16 v34, v30, s12, v84
	;; [unrolled: 1-line block ×4, first 2 shown]
	v_sub_f16_e32 v84, v42, v45
	v_sub_f16_e32 v85, v97, v87
	;; [unrolled: 1-line block ×3, first 2 shown]
	v_fma_f16 v49, v62, s13, v49
	v_fma_f16 v79, v84, s0, v79
	v_add_f16_e32 v85, v85, v96
	v_fma_f16 v49, v84, s14, v49
	v_fma_f16 v79, v85, s12, v79
	;; [unrolled: 1-line block ×3, first 2 shown]
	v_add_f16_e32 v85, v97, v89
	v_fma_f16 v30, v30, s12, v41
	v_add_f16_e32 v41, v40, v97
	v_fma_f16 v40, v85, -0.5, v40
	v_fma_f16 v85, v84, s13, v40
	v_sub_f16_e32 v96, v87, v97
	v_sub_f16_e32 v106, v88, v89
	v_add_f16_e32 v41, v41, v87
	v_fma_f16 v85, v62, s0, v85
	v_add_f16_e32 v96, v96, v106
	v_fma_f16 v40, v84, s1, v40
	v_add_f16_e32 v84, v42, v45
	v_add_f16_e32 v41, v41, v88
	v_fma_f16 v106, v96, s12, v85
	v_fma_f16 v84, v84, -0.5, v86
	v_sub_f16_e32 v85, v97, v89
	v_add_f16_e32 v41, v41, v89
	v_fma_f16 v40, v62, s14, v40
	v_fma_f16 v89, v85, s13, v84
	v_sub_f16_e32 v87, v87, v88
	v_fma_f16 v40, v96, s12, v40
	v_fma_f16 v88, v87, s14, v89
	v_sub_f16_e32 v89, v43, v42
	v_sub_f16_e32 v96, v50, v45
	v_fma_f16 v84, v85, s1, v84
	v_add_f16_e32 v62, v86, v43
	v_add_f16_e32 v89, v89, v96
	v_fma_f16 v84, v87, s0, v84
	v_add_f16_e32 v62, v62, v42
	v_fma_f16 v88, v89, s12, v88
	v_fma_f16 v89, v89, s12, v84
	v_add_f16_e32 v84, v43, v50
	v_add_f16_e32 v62, v62, v45
	v_fma_f16 v84, v84, -0.5, v86
	v_add_f16_e32 v62, v62, v50
	v_fma_f16 v86, v87, s1, v84
	v_sub_f16_e32 v42, v42, v43
	v_sub_f16_e32 v43, v45, v50
	v_add_f16_e32 v50, v91, v92
	v_fma_f16 v86, v85, s14, v86
	v_add_f16_e32 v42, v42, v43
	v_fma_f16 v45, v87, s13, v84
	v_fma_f16 v50, v50, -0.5, v19
	v_sub_f16_e32 v84, v44, v31
	v_fma_f16 v43, v42, s12, v86
	v_fma_f16 v45, v85, s0, v45
	;; [unrolled: 1-line block ×3, first 2 shown]
	v_sub_f16_e32 v86, v26, v46
	v_sub_f16_e32 v87, v98, v91
	v_sub_f16_e32 v96, v93, v92
	v_fma_f16 v85, v86, s0, v85
	v_add_f16_e32 v87, v87, v96
	v_fma_f16 v96, v87, s12, v85
	v_add_f16_e32 v85, v98, v93
	;; [unrolled: 2-line block ×3, first 2 shown]
	v_fma_f16 v19, v85, -0.5, v19
	v_fma_f16 v50, v84, s13, v50
	v_fma_f16 v85, v86, s13, v19
	;; [unrolled: 1-line block ×6, first 2 shown]
	v_add_f16_e32 v84, v90, v44
	v_fma_f16 v50, v87, s12, v50
	v_sub_f16_e32 v87, v91, v98
	v_sub_f16_e32 v97, v92, v93
	v_add_f16_e32 v84, v84, v26
	v_add_f16_e32 v87, v87, v97
	;; [unrolled: 1-line block ×4, first 2 shown]
	v_fma_f16 v97, v87, s12, v85
	v_fma_f16 v19, v87, s12, v19
	v_add_f16_e32 v87, v84, v31
	v_add_f16_e32 v84, v26, v46
	;; [unrolled: 1-line block ×3, first 2 shown]
	v_fma_f16 v84, v84, -0.5, v90
	v_sub_f16_e32 v85, v98, v93
	v_add_f16_e32 v45, v45, v93
	v_fma_f16 v86, v85, s13, v84
	v_sub_f16_e32 v91, v91, v92
	v_sub_f16_e32 v92, v44, v26
	;; [unrolled: 1-line block ×3, first 2 shown]
	v_fma_f16 v84, v85, s1, v84
	v_fma_f16 v86, v91, s14, v86
	v_add_f16_e32 v92, v92, v93
	v_fma_f16 v84, v91, s0, v84
	v_fma_f16 v93, v92, s12, v86
	v_fma_f16 v92, v92, s12, v84
	v_add_f16_e32 v84, v44, v31
	v_fma_f16 v84, v84, -0.5, v90
	v_fma_f16 v86, v91, s1, v84
	v_sub_f16_e32 v26, v26, v44
	v_sub_f16_e32 v31, v46, v31
	v_fma_f16 v44, v91, s13, v84
	v_fma_f16 v86, v85, s14, v86
	v_add_f16_e32 v26, v26, v31
	v_fma_f16 v44, v85, s0, v44
	v_fma_f16 v31, v26, s12, v86
	;; [unrolled: 1-line block ×3, first 2 shown]
	v_pack_b32_f16 v44, v94, v101
	v_pack_b32_f16 v46, v102, v57
	ds_write2_b32 v64, v44, v46 offset1:13
	v_pack_b32_f16 v44, v104, v47
	v_pack_b32_f16 v17, v17, v20
	ds_write2_b32 v64, v44, v17 offset0:26 offset1:39
	v_pack_b32_f16 v17, v100, v99
	v_pack_b32_f16 v20, v21, v54
	ds_write2_b32 v64, v17, v20 offset0:52 offset1:65
	;; [unrolled: 3-line block ×4, first 2 shown]
	v_and_b32_e32 v17, 0xff, v23
	v_lshl_add_u32 v84, v17, 2, v78
	v_pack_b32_f16 v17, v33, v58
	v_pack_b32_f16 v18, v59, v105
	ds_write2_b32 v84, v17, v18 offset0:130 offset1:143
	v_pack_b32_f16 v17, v95, v34
	v_pack_b32_f16 v18, v39, v30
	ds_write2_b32 v84, v17, v18 offset0:156 offset1:169
	v_pack_b32_f16 v17, v48, v61
	ds_write_b32 v84, v17 offset:728
	v_and_b32_e32 v17, 0xff, v35
	v_lshl_add_u32 v85, v17, 2, v78
	v_pack_b32_f16 v17, v41, v62
	v_pack_b32_f16 v18, v79, v88
	ds_write2_b32 v85, v17, v18 offset0:195 offset1:208
	v_pack_b32_f16 v17, v106, v43
	v_pack_b32_f16 v18, v40, v42
	ds_write2_b32 v85, v17, v18 offset0:221 offset1:234
	v_pack_b32_f16 v17, v49, v89
	ds_write_b32 v85, v17 offset:988
	v_and_b32_e32 v17, 0xff, v53
	v_lshl_add_u32 v86, v17, 2, v78
	v_pack_b32_f16 v17, v45, v87
	v_pack_b32_f16 v18, v96, v93
	v_add_u32_e32 v20, 0x400, v86
	ds_write2_b32 v20, v17, v18 offset0:4 offset1:17
	v_pack_b32_f16 v17, v97, v31
	v_pack_b32_f16 v18, v19, v26
	ds_write2_b32 v20, v17, v18 offset0:30 offset1:43
	v_pack_b32_f16 v17, v50, v92
	ds_write_b32 v86, v17 offset:1248
	s_waitcnt lgkmcnt(0)
	; wave barrier
	s_waitcnt lgkmcnt(0)
	global_load_dwordx4 v[16:19], v16, s[4:5] offset:208
	v_lshlrev_b32_e32 v20, 4, v24
	global_load_dwordx4 v[20:23], v20, s[4:5] offset:208
	v_lshlrev_b32_e32 v24, 4, v25
	global_load_dwordx4 v[24:27], v24, s[4:5] offset:208
	ds_read2_b32 v[39:40], v64 offset1:13
	ds_read2_b32 v[48:49], v64 offset0:52 offset1:65
	ds_read2_b32 v[41:42], v64 offset0:130 offset1:143
	;; [unrolled: 1-line block ×5, first 2 shown]
	global_load_dwordx4 v[28:31], v28, s[4:5] offset:208
	ds_read2_b32 v[55:56], v64 offset0:208 offset1:221
	global_load_dwordx4 v[32:35], v32, s[4:5] offset:208
	s_waitcnt lgkmcnt(5)
	v_lshrrev_b32_e32 v50, 16, v49
	s_waitcnt lgkmcnt(4)
	v_lshrrev_b32_e32 v79, 16, v41
	;; [unrolled: 2-line block ×5, first 2 shown]
	v_lshrrev_b32_e32 v95, 16, v42
	s_waitcnt lgkmcnt(0)
	v_lshrrev_b32_e32 v96, 16, v55
	ds_read2_b32 v[59:60], v64 offset0:156 offset1:169
	v_lshrrev_b32_e32 v97, 16, v46
	v_lshrrev_b32_e32 v99, 16, v54
	ds_read2_b32 v[61:62], v52 offset0:30 offset1:43
	ds_read2_b32 v[87:88], v64 offset0:104 offset1:117
	s_waitcnt lgkmcnt(2)
	v_lshrrev_b32_e32 v100, 16, v59
	v_lshrrev_b32_e32 v101, 16, v56
	ds_read2_b32 v[89:90], v64 offset0:234 offset1:247
	s_waitcnt lgkmcnt(2)
	v_lshrrev_b32_e32 v102, 16, v61
	s_waitcnt lgkmcnt(1)
	v_lshrrev_b32_e32 v104, 16, v87
	v_lshrrev_b32_e32 v105, 16, v60
	;; [unrolled: 1-line block ×3, first 2 shown]
	s_waitcnt lgkmcnt(0)
	v_lshrrev_b32_e32 v106, 16, v89
	v_lshrrev_b32_e32 v110, 16, v88
	ds_read_b32 v108, v64 offset:1248
	v_lshrrev_b32_e32 v111, 16, v43
	v_lshrrev_b32_e32 v112, 16, v90
	;; [unrolled: 1-line block ×4, first 2 shown]
	s_waitcnt lgkmcnt(0)
	v_lshrrev_b32_e32 v113, 16, v108
	ds_read2_b32 v[57:58], v64 offset0:26 offset1:39
	v_lshrrev_b32_e32 v109, 16, v48
	s_waitcnt lgkmcnt(0)
	v_lshrrev_b32_e32 v98, 16, v57
	v_lshrrev_b32_e32 v103, 16, v58
	s_waitcnt vmcnt(4)
	v_mul_f16_sdwa v114, v50, v16 dst_sel:DWORD dst_unused:UNUSED_PAD src0_sel:DWORD src1_sel:WORD_1
	v_fma_f16 v114, v49, v16, -v114
	v_mul_f16_sdwa v49, v49, v16 dst_sel:DWORD dst_unused:UNUSED_PAD src0_sel:DWORD src1_sel:WORD_1
	v_fma_f16 v49, v50, v16, v49
	v_mul_f16_sdwa v50, v79, v17 dst_sel:DWORD dst_unused:UNUSED_PAD src0_sel:DWORD src1_sel:WORD_1
	v_fma_f16 v50, v41, v17, -v50
	v_mul_f16_sdwa v41, v41, v17 dst_sel:DWORD dst_unused:UNUSED_PAD src0_sel:DWORD src1_sel:WORD_1
	v_fma_f16 v41, v79, v17, v41
	v_mul_f16_sdwa v79, v91, v18 dst_sel:DWORD dst_unused:UNUSED_PAD src0_sel:DWORD src1_sel:WORD_1
	v_fma_f16 v79, v44, v18, -v79
	v_mul_f16_sdwa v44, v44, v18 dst_sel:DWORD dst_unused:UNUSED_PAD src0_sel:DWORD src1_sel:WORD_1
	v_fma_f16 v44, v91, v18, v44
	v_mul_f16_sdwa v91, v92, v19 dst_sel:DWORD dst_unused:UNUSED_PAD src0_sel:DWORD src1_sel:WORD_1
	v_fma_f16 v91, v45, v19, -v91
	v_mul_f16_sdwa v45, v45, v19 dst_sel:DWORD dst_unused:UNUSED_PAD src0_sel:DWORD src1_sel:WORD_1
	v_fma_f16 v45, v92, v19, v45
	s_waitcnt vmcnt(3)
	v_mul_f16_sdwa v92, v94, v20 dst_sel:DWORD dst_unused:UNUSED_PAD src0_sel:DWORD src1_sel:WORD_1
	v_fma_f16 v92, v53, v20, -v92
	v_mul_f16_sdwa v53, v53, v20 dst_sel:DWORD dst_unused:UNUSED_PAD src0_sel:DWORD src1_sel:WORD_1
	v_fma_f16 v53, v94, v20, v53
	v_mul_f16_sdwa v94, v95, v21 dst_sel:DWORD dst_unused:UNUSED_PAD src0_sel:DWORD src1_sel:WORD_1
	v_fma_f16 v94, v42, v21, -v94
	v_mul_f16_sdwa v42, v42, v21 dst_sel:DWORD dst_unused:UNUSED_PAD src0_sel:DWORD src1_sel:WORD_1
	v_fma_f16 v42, v95, v21, v42
	v_mul_f16_sdwa v95, v96, v22 dst_sel:DWORD dst_unused:UNUSED_PAD src0_sel:DWORD src1_sel:WORD_1
	v_fma_f16 v95, v55, v22, -v95
	v_mul_f16_sdwa v55, v55, v22 dst_sel:DWORD dst_unused:UNUSED_PAD src0_sel:DWORD src1_sel:WORD_1
	v_fma_f16 v55, v96, v22, v55
	v_mul_f16_sdwa v96, v97, v23 dst_sel:DWORD dst_unused:UNUSED_PAD src0_sel:DWORD src1_sel:WORD_1
	v_fma_f16 v96, v46, v23, -v96
	v_mul_f16_sdwa v46, v46, v23 dst_sel:DWORD dst_unused:UNUSED_PAD src0_sel:DWORD src1_sel:WORD_1
	v_fma_f16 v46, v97, v23, v46
	;; [unrolled: 17-line block ×3, first 2 shown]
	s_waitcnt vmcnt(1)
	v_mul_f16_sdwa v102, v104, v28 dst_sel:DWORD dst_unused:UNUSED_PAD src0_sel:DWORD src1_sel:WORD_1
	v_fma_f16 v102, v87, v28, -v102
	v_mul_f16_sdwa v87, v87, v28 dst_sel:DWORD dst_unused:UNUSED_PAD src0_sel:DWORD src1_sel:WORD_1
	v_fma_f16 v87, v104, v28, v87
	v_mul_f16_sdwa v104, v105, v29 dst_sel:DWORD dst_unused:UNUSED_PAD src0_sel:DWORD src1_sel:WORD_1
	v_fma_f16 v104, v60, v29, -v104
	v_mul_f16_sdwa v60, v60, v29 dst_sel:DWORD dst_unused:UNUSED_PAD src0_sel:DWORD src1_sel:WORD_1
	v_fma_f16 v60, v105, v29, v60
	v_mul_f16_sdwa v105, v106, v30 dst_sel:DWORD dst_unused:UNUSED_PAD src0_sel:DWORD src1_sel:WORD_1
	v_fma_f16 v105, v89, v30, -v105
	v_mul_f16_sdwa v89, v89, v30 dst_sel:DWORD dst_unused:UNUSED_PAD src0_sel:DWORD src1_sel:WORD_1
	v_fma_f16 v106, v106, v30, v89
	v_mul_f16_sdwa v89, v107, v31 dst_sel:DWORD dst_unused:UNUSED_PAD src0_sel:DWORD src1_sel:WORD_1
	v_fma_f16 v115, v62, v31, -v89
	v_mul_f16_sdwa v62, v62, v31 dst_sel:DWORD dst_unused:UNUSED_PAD src0_sel:DWORD src1_sel:WORD_1
	s_waitcnt vmcnt(0)
	v_mul_f16_sdwa v89, v110, v32 dst_sel:DWORD dst_unused:UNUSED_PAD src0_sel:DWORD src1_sel:WORD_1
	v_fma_f16 v62, v107, v31, v62
	v_fma_f16 v107, v88, v32, -v89
	v_mul_f16_sdwa v88, v88, v32 dst_sel:DWORD dst_unused:UNUSED_PAD src0_sel:DWORD src1_sel:WORD_1
	v_fma_f16 v110, v110, v32, v88
	v_mul_f16_sdwa v88, v111, v33 dst_sel:DWORD dst_unused:UNUSED_PAD src0_sel:DWORD src1_sel:WORD_1
	v_fma_f16 v116, v43, v33, -v88
	v_mul_f16_sdwa v43, v43, v33 dst_sel:DWORD dst_unused:UNUSED_PAD src0_sel:DWORD src1_sel:WORD_1
	v_fma_f16 v111, v111, v33, v43
	v_mul_f16_sdwa v43, v112, v34 dst_sel:DWORD dst_unused:UNUSED_PAD src0_sel:DWORD src1_sel:WORD_1
	;; [unrolled: 4-line block ×3, first 2 shown]
	v_fma_f16 v118, v108, v35, -v43
	v_mul_f16_sdwa v43, v108, v35 dst_sel:DWORD dst_unused:UNUSED_PAD src0_sel:DWORD src1_sel:WORD_1
	v_fma_f16 v108, v113, v35, v43
	v_add_f16_e32 v43, v39, v114
	v_add_f16_e32 v43, v43, v50
	;; [unrolled: 1-line block ×5, first 2 shown]
	v_fma_f16 v43, v43, -0.5, v39
	v_sub_f16_e32 v88, v49, v45
	v_fma_f16 v89, v88, s1, v43
	v_sub_f16_e32 v90, v41, v44
	v_sub_f16_e32 v119, v114, v50
	v_sub_f16_e32 v120, v91, v79
	v_fma_f16 v43, v88, s13, v43
	v_fma_f16 v89, v90, s0, v89
	v_add_f16_e32 v119, v119, v120
	v_fma_f16 v43, v90, s14, v43
	v_fma_f16 v120, v119, s12, v89
	;; [unrolled: 1-line block ×3, first 2 shown]
	v_add_f16_e32 v43, v114, v91
	v_fma_f16 v39, v43, -0.5, v39
	v_fma_f16 v43, v90, s13, v39
	v_sub_f16_e32 v89, v50, v114
	v_sub_f16_e32 v121, v79, v91
	v_fma_f16 v39, v90, s1, v39
	v_add_f16_e32 v89, v89, v121
	v_fma_f16 v39, v88, s14, v39
	v_fma_f16 v122, v89, s12, v39
	v_add_f16_e32 v39, v47, v49
	v_add_f16_e32 v39, v39, v41
	;; [unrolled: 1-line block ×3, first 2 shown]
	v_fma_f16 v43, v88, s0, v43
	v_add_f16_e32 v123, v39, v45
	v_add_f16_e32 v39, v41, v44
	v_fma_f16 v121, v89, s12, v43
	v_fma_f16 v39, v39, -0.5, v47
	v_sub_f16_e32 v43, v114, v91
	v_fma_f16 v88, v43, s13, v39
	v_sub_f16_e32 v50, v50, v79
	v_fma_f16 v79, v50, s14, v88
	v_sub_f16_e32 v88, v49, v41
	v_sub_f16_e32 v89, v45, v44
	v_fma_f16 v39, v43, s1, v39
	v_add_f16_e32 v88, v88, v89
	v_fma_f16 v39, v50, s0, v39
	v_fma_f16 v124, v88, s12, v39
	v_add_f16_e32 v39, v49, v45
	v_fma_f16 v39, v39, -0.5, v47
	v_fma_f16 v47, v50, s1, v39
	v_sub_f16_e32 v41, v41, v49
	v_sub_f16_e32 v44, v44, v45
	v_fma_f16 v39, v50, s13, v39
	v_add_f16_e32 v41, v41, v44
	v_fma_f16 v39, v43, s0, v39
	v_fma_f16 v126, v41, s12, v39
	v_add_f16_e32 v39, v40, v92
	v_add_f16_e32 v39, v39, v94
	;; [unrolled: 1-line block ×3, first 2 shown]
	v_fma_f16 v47, v43, s14, v47
	v_add_f16_e32 v127, v39, v96
	v_add_f16_e32 v39, v94, v95
	v_fma_f16 v125, v41, s12, v47
	v_fma_f16 v39, v39, -0.5, v40
	v_sub_f16_e32 v41, v53, v46
	v_fma_f16 v43, v41, s1, v39
	v_sub_f16_e32 v44, v42, v55
	v_sub_f16_e32 v45, v92, v94
	;; [unrolled: 1-line block ×3, first 2 shown]
	v_fma_f16 v39, v41, s13, v39
	v_add_f16_e32 v45, v45, v47
	v_fma_f16 v39, v44, s14, v39
	v_fma_f16 v129, v45, s12, v39
	v_add_f16_e32 v39, v92, v96
	v_fma_f16 v43, v44, s0, v43
	v_fma_f16 v39, v39, -0.5, v40
	v_fma_f16 v128, v45, s12, v43
	v_fma_f16 v40, v44, s13, v39
	v_sub_f16_e32 v43, v94, v92
	v_sub_f16_e32 v45, v95, v96
	v_fma_f16 v39, v44, s1, v39
	v_add_f16_e32 v43, v43, v45
	v_fma_f16 v39, v41, s14, v39
	v_fma_f16 v131, v43, s12, v39
	v_add_f16_e32 v39, v93, v53
	v_add_f16_e32 v39, v39, v42
	;; [unrolled: 1-line block ×3, first 2 shown]
	v_fma_f16 v40, v41, s0, v40
	v_add_f16_e32 v132, v39, v46
	v_add_f16_e32 v39, v42, v55
	v_fma_f16 v130, v43, s12, v40
	v_fma_f16 v39, v39, -0.5, v93
	v_sub_f16_e32 v40, v92, v96
	v_fma_f16 v41, v40, s13, v39
	v_sub_f16_e32 v43, v94, v95
	v_sub_f16_e32 v44, v53, v42
	;; [unrolled: 1-line block ×3, first 2 shown]
	v_fma_f16 v39, v40, s1, v39
	v_add_f16_e32 v44, v44, v45
	v_fma_f16 v39, v43, s0, v39
	v_fma_f16 v134, v44, s12, v39
	v_add_f16_e32 v39, v53, v46
	v_fma_f16 v41, v43, s14, v41
	v_fma_f16 v39, v39, -0.5, v93
	v_fma_f16 v133, v44, s12, v41
	v_fma_f16 v41, v43, s1, v39
	v_sub_f16_e32 v42, v42, v53
	v_sub_f16_e32 v44, v55, v46
	v_fma_f16 v39, v43, s13, v39
	v_add_f16_e32 v42, v42, v44
	v_fma_f16 v39, v40, s0, v39
	v_fma_f16 v55, v42, s12, v39
	v_add_f16_e32 v39, v57, v97
	v_add_f16_e32 v39, v39, v99
	;; [unrolled: 1-line block ×3, first 2 shown]
	v_fma_f16 v41, v40, s14, v41
	v_add_f16_e32 v135, v39, v101
	v_add_f16_e32 v39, v99, v100
	v_fma_f16 v53, v42, s12, v41
	v_fma_f16 v39, v39, -0.5, v57
	v_sub_f16_e32 v41, v54, v61
	v_fma_f16 v40, v41, s1, v39
	v_sub_f16_e32 v42, v59, v56
	v_sub_f16_e32 v43, v97, v99
	;; [unrolled: 1-line block ×3, first 2 shown]
	v_fma_f16 v39, v41, s13, v39
	v_fma_f16 v40, v42, s0, v40
	v_add_f16_e32 v43, v43, v44
	v_fma_f16 v39, v42, s14, v39
	v_fma_f16 v136, v43, s12, v40
	;; [unrolled: 1-line block ×3, first 2 shown]
	v_add_f16_e32 v39, v97, v101
	v_fma_f16 v39, v39, -0.5, v57
	v_fma_f16 v43, v42, s13, v39
	v_fma_f16 v39, v42, s1, v39
	;; [unrolled: 1-line block ×4, first 2 shown]
	v_add_f16_e32 v41, v98, v54
	v_add_f16_e32 v41, v41, v59
	;; [unrolled: 1-line block ×3, first 2 shown]
	v_sub_f16_e32 v44, v99, v97
	v_sub_f16_e32 v45, v100, v101
	v_add_f16_e32 v137, v41, v61
	v_add_f16_e32 v41, v59, v56
	v_add_f16_e32 v44, v44, v45
	v_fma_f16 v41, v41, -0.5, v98
	v_sub_f16_e32 v42, v97, v101
	v_fma_f16 v57, v44, s12, v43
	v_fma_f16 v39, v44, s12, v39
	;; [unrolled: 1-line block ×3, first 2 shown]
	v_sub_f16_e32 v44, v99, v100
	v_sub_f16_e32 v45, v54, v59
	;; [unrolled: 1-line block ×3, first 2 shown]
	v_fma_f16 v41, v42, s1, v41
	v_add_f16_e32 v45, v45, v46
	v_fma_f16 v41, v44, s0, v41
	v_fma_f16 v89, v45, s12, v41
	v_add_f16_e32 v41, v54, v61
	v_fma_f16 v43, v44, s14, v43
	v_fma_f16 v41, v41, -0.5, v98
	v_fma_f16 v100, v45, s12, v43
	v_fma_f16 v43, v44, s1, v41
	v_sub_f16_e32 v45, v59, v54
	v_sub_f16_e32 v46, v56, v61
	v_fma_f16 v41, v44, s13, v41
	v_fma_f16 v43, v42, s14, v43
	v_add_f16_e32 v45, v45, v46
	v_fma_f16 v41, v42, s0, v41
	v_add_f16_e32 v42, v104, v105
	v_fma_f16 v54, v45, s12, v43
	v_fma_f16 v43, v42, -0.5, v58
	v_sub_f16_e32 v44, v87, v62
	v_fma_f16 v114, v88, s12, v79
	v_fma_f16 v88, v45, s12, v41
	;; [unrolled: 1-line block ×3, first 2 shown]
	v_sub_f16_e32 v46, v60, v106
	v_sub_f16_e32 v45, v102, v104
	;; [unrolled: 1-line block ×3, first 2 shown]
	v_fma_f16 v43, v44, s13, v43
	v_fma_f16 v42, v46, s0, v42
	v_add_f16_e32 v45, v45, v47
	v_fma_f16 v43, v46, s14, v43
	v_fma_f16 v42, v45, s12, v42
	v_fma_f16 v43, v45, s12, v43
	v_add_f16_e32 v45, v102, v115
	v_fma_f16 v47, v45, -0.5, v58
	v_fma_f16 v45, v46, s13, v47
	v_sub_f16_e32 v49, v104, v102
	v_sub_f16_e32 v50, v105, v115
	v_fma_f16 v46, v46, s1, v47
	v_fma_f16 v45, v44, s0, v45
	v_add_f16_e32 v49, v49, v50
	v_fma_f16 v44, v44, s14, v46
	v_fma_f16 v46, v49, s12, v44
	v_add_f16_e32 v44, v103, v87
	v_add_f16_e32 v44, v44, v60
	;; [unrolled: 1-line block ×5, first 2 shown]
	v_fma_f16 v44, v44, -0.5, v103
	v_sub_f16_e32 v47, v102, v115
	v_add_f16_e32 v41, v58, v102
	v_fma_f16 v45, v49, s12, v45
	v_fma_f16 v49, v47, s13, v44
	v_sub_f16_e32 v50, v104, v105
	v_sub_f16_e32 v56, v87, v60
	v_sub_f16_e32 v58, v62, v106
	v_fma_f16 v44, v47, s1, v44
	v_add_f16_e32 v56, v56, v58
	v_fma_f16 v44, v50, s0, v44
	v_fma_f16 v92, v56, s12, v44
	v_add_f16_e32 v44, v87, v62
	v_fma_f16 v49, v50, s14, v49
	v_fma_f16 v44, v44, -0.5, v103
	v_fma_f16 v91, v56, s12, v49
	v_fma_f16 v49, v50, s1, v44
	v_sub_f16_e32 v56, v60, v87
	v_sub_f16_e32 v58, v106, v62
	v_fma_f16 v44, v50, s13, v44
	v_fma_f16 v49, v47, s14, v49
	v_add_f16_e32 v56, v56, v58
	v_fma_f16 v44, v47, s0, v44
	v_add_f16_e32 v47, v116, v117
	v_fma_f16 v93, v56, s12, v49
	v_fma_f16 v94, v56, s12, v44
	v_fma_f16 v49, v47, -0.5, v48
	v_sub_f16_e32 v56, v110, v108
	v_fma_f16 v47, v56, s1, v49
	v_sub_f16_e32 v58, v111, v112
	v_sub_f16_e32 v50, v107, v116
	;; [unrolled: 1-line block ×3, first 2 shown]
	v_fma_f16 v49, v56, s13, v49
	v_fma_f16 v47, v58, s0, v47
	v_add_f16_e32 v50, v50, v59
	v_fma_f16 v49, v58, s14, v49
	v_fma_f16 v47, v50, s12, v47
	v_fma_f16 v50, v50, s12, v49
	v_add_f16_e32 v49, v107, v118
	v_fma_f16 v49, v49, -0.5, v48
	v_add_f16_e32 v44, v48, v107
	v_fma_f16 v48, v58, s13, v49
	v_fma_f16 v49, v58, s1, v49
	v_fma_f16 v48, v56, s0, v48
	v_fma_f16 v49, v56, s14, v49
	v_add_f16_e32 v56, v109, v110
	v_add_f16_e32 v56, v56, v111
	v_add_f16_e32 v56, v56, v112
	v_sub_f16_e32 v59, v116, v107
	v_sub_f16_e32 v60, v117, v118
	v_add_f16_e32 v95, v56, v108
	v_add_f16_e32 v56, v111, v112
	;; [unrolled: 1-line block ×3, first 2 shown]
	v_fma_f16 v56, v56, -0.5, v109
	v_sub_f16_e32 v58, v107, v118
	v_fma_f16 v48, v59, s12, v48
	v_fma_f16 v49, v59, s12, v49
	;; [unrolled: 1-line block ×3, first 2 shown]
	v_sub_f16_e32 v60, v116, v117
	v_sub_f16_e32 v61, v110, v111
	v_sub_f16_e32 v62, v108, v112
	v_fma_f16 v56, v58, s1, v56
	v_add_f16_e32 v61, v61, v62
	v_fma_f16 v56, v60, s0, v56
	v_fma_f16 v97, v61, s12, v56
	v_add_f16_e32 v56, v110, v108
	v_fma_f16 v59, v60, s14, v59
	v_fma_f16 v56, v56, -0.5, v109
	v_fma_f16 v96, v61, s12, v59
	v_fma_f16 v59, v60, s1, v56
	v_sub_f16_e32 v61, v111, v110
	v_sub_f16_e32 v62, v112, v108
	v_fma_f16 v56, v60, s13, v56
	v_fma_f16 v59, v58, s14, v59
	v_add_f16_e32 v61, v61, v62
	v_fma_f16 v56, v58, s0, v56
	v_lshl_add_u32 v79, v63, 2, v78
	v_pack_b32_f16 v58, v121, v125
	v_pack_b32_f16 v53, v130, v53
	v_fma_f16 v98, v61, s12, v59
	v_pack_b32_f16 v59, v122, v126
	ds_write2_b32 v79, v58, v53 offset0:130 offset1:143
	v_pack_b32_f16 v53, v131, v55
	v_pack_b32_f16 v60, v119, v124
	ds_write2_b32 v79, v59, v53 offset0:195 offset1:208
	v_pack_b32_f16 v53, v129, v134
	v_add_u32_e32 v55, 0x400, v79
	v_fma_f16 v99, v61, s12, v56
	v_pack_b32_f16 v61, v127, v132
	ds_write2_b32 v55, v60, v53 offset0:4 offset1:17
	v_pack_b32_f16 v53, v135, v137
	v_pack_b32_f16 v56, v113, v123
	ds_write2_b32 v79, v61, v53 offset0:13 offset1:26
	v_pack_b32_f16 v53, v136, v100
	v_pack_b32_f16 v59, v42, v91
	v_add_f16_e32 v41, v41, v104
	v_add_f16_e32 v44, v44, v116
	ds_write_b32 v64, v56
	v_pack_b32_f16 v56, v120, v114
	v_pack_b32_f16 v62, v128, v133
	;; [unrolled: 1-line block ×3, first 2 shown]
	ds_write2_b32 v79, v53, v59 offset0:91 offset1:104
	v_pack_b32_f16 v53, v45, v93
	v_add_f16_e32 v41, v41, v105
	v_add_f16_e32 v44, v44, v117
	ds_write2_b32 v79, v56, v62 offset0:65 offset1:78
	v_pack_b32_f16 v56, v39, v88
	ds_write2_b32 v79, v54, v53 offset0:156 offset1:169
	v_pack_b32_f16 v53, v46, v94
	v_add_f16_e32 v41, v41, v115
	v_add_f16_e32 v44, v44, v118
	v_pack_b32_f16 v57, v40, v89
	ds_write2_b32 v79, v56, v53 offset0:221 offset1:234
	v_pack_b32_f16 v53, v43, v92
	v_pack_b32_f16 v58, v41, v90
	ds_write2_b32 v55, v57, v53 offset0:30 offset1:43
	v_pack_b32_f16 v53, v44, v95
	ds_write2_b32 v79, v58, v53 offset0:39 offset1:52
	v_pack_b32_f16 v53, v47, v96
	v_pack_b32_f16 v54, v48, v98
	ds_write2_b32 v64, v53, v54 offset0:117 offset1:182
	v_pack_b32_f16 v53, v49, v99
	v_pack_b32_f16 v54, v50, v97
	v_add_u32_e32 v61, 0x200, v64
	ds_write2_b32 v61, v53, v54 offset0:119 offset1:184
	s_waitcnt lgkmcnt(0)
	; wave barrier
	s_waitcnt lgkmcnt(0)
	global_load_dword v55, v[36:37], off offset:1300
	s_add_u32 s0, s2, 0x514
	s_addc_u32 s1, s3, 0
	global_load_dword v57, v51, s[0:1] offset:100
	global_load_dword v58, v51, s[0:1] offset:200
	;; [unrolled: 1-line block ×10, first 2 shown]
	ds_read2_b32 v[53:54], v64 offset1:25
	global_load_dword v104, v51, s[0:1] offset:1100
	s_waitcnt lgkmcnt(0)
	v_lshrrev_b32_e32 v56, 16, v53
	v_lshrrev_b32_e32 v106, 16, v54
	s_waitcnt vmcnt(11)
	v_mul_f16_sdwa v105, v56, v55 dst_sel:DWORD dst_unused:UNUSED_PAD src0_sel:DWORD src1_sel:WORD_1
	v_fma_f16 v105, v53, v55, -v105
	v_mul_f16_sdwa v53, v53, v55 dst_sel:DWORD dst_unused:UNUSED_PAD src0_sel:DWORD src1_sel:WORD_1
	v_fma_f16 v53, v56, v55, v53
	v_pack_b32_f16 v53, v105, v53
	global_load_dword v105, v51, s[0:1] offset:1200
	s_waitcnt vmcnt(11)
	v_mul_f16_sdwa v55, v106, v57 dst_sel:DWORD dst_unused:UNUSED_PAD src0_sel:DWORD src1_sel:WORD_1
	v_fma_f16 v107, v54, v57, -v55
	ds_read2_b32 v[55:56], v64 offset0:50 offset1:75
	v_mul_f16_sdwa v54, v54, v57 dst_sel:DWORD dst_unused:UNUSED_PAD src0_sel:DWORD src1_sel:WORD_1
	v_fma_f16 v54, v106, v57, v54
	v_pack_b32_f16 v54, v107, v54
	ds_write2_b32 v64, v53, v54 offset1:25
	s_waitcnt lgkmcnt(1)
	v_lshrrev_b32_e32 v53, 16, v55
	s_waitcnt vmcnt(10)
	v_mul_f16_sdwa v54, v53, v58 dst_sel:DWORD dst_unused:UNUSED_PAD src0_sel:DWORD src1_sel:WORD_1
	v_fma_f16 v54, v55, v58, -v54
	v_mul_f16_sdwa v55, v55, v58 dst_sel:DWORD dst_unused:UNUSED_PAD src0_sel:DWORD src1_sel:WORD_1
	v_fma_f16 v53, v53, v58, v55
	v_lshrrev_b32_e32 v57, 16, v56
	v_pack_b32_f16 v55, v54, v53
	s_waitcnt vmcnt(9)
	v_mul_f16_sdwa v53, v57, v59 dst_sel:DWORD dst_unused:UNUSED_PAD src0_sel:DWORD src1_sel:WORD_1
	v_fma_f16 v58, v56, v59, -v53
	ds_read2_b32 v[53:54], v64 offset0:100 offset1:125
	v_mul_f16_sdwa v56, v56, v59 dst_sel:DWORD dst_unused:UNUSED_PAD src0_sel:DWORD src1_sel:WORD_1
	v_fma_f16 v56, v57, v59, v56
	v_pack_b32_f16 v56, v58, v56
	ds_write2_b32 v64, v55, v56 offset0:50 offset1:75
	s_waitcnt lgkmcnt(1)
	v_lshrrev_b32_e32 v55, 16, v53
	s_waitcnt vmcnt(8)
	v_mul_f16_sdwa v56, v55, v60 dst_sel:DWORD dst_unused:UNUSED_PAD src0_sel:DWORD src1_sel:WORD_1
	v_fma_f16 v56, v53, v60, -v56
	v_mul_f16_sdwa v53, v53, v60 dst_sel:DWORD dst_unused:UNUSED_PAD src0_sel:DWORD src1_sel:WORD_1
	v_lshrrev_b32_e32 v57, 16, v54
	v_fma_f16 v53, v55, v60, v53
	s_waitcnt vmcnt(7)
	v_mul_f16_sdwa v55, v57, v62 dst_sel:DWORD dst_unused:UNUSED_PAD src0_sel:DWORD src1_sel:WORD_1
	v_pack_b32_f16 v53, v56, v53
	v_fma_f16 v58, v54, v62, -v55
	ds_read2_b32 v[55:56], v64 offset0:150 offset1:175
	v_mul_f16_sdwa v54, v54, v62 dst_sel:DWORD dst_unused:UNUSED_PAD src0_sel:DWORD src1_sel:WORD_1
	v_fma_f16 v54, v57, v62, v54
	v_pack_b32_f16 v54, v58, v54
	ds_write2_b32 v64, v53, v54 offset0:100 offset1:125
	s_waitcnt lgkmcnt(1)
	v_lshrrev_b32_e32 v53, 16, v55
	s_waitcnt vmcnt(6)
	v_mul_f16_sdwa v54, v53, v87 dst_sel:DWORD dst_unused:UNUSED_PAD src0_sel:DWORD src1_sel:WORD_1
	v_fma_f16 v54, v55, v87, -v54
	v_mul_f16_sdwa v55, v55, v87 dst_sel:DWORD dst_unused:UNUSED_PAD src0_sel:DWORD src1_sel:WORD_1
	v_fma_f16 v53, v53, v87, v55
	v_lshrrev_b32_e32 v57, 16, v56
	v_pack_b32_f16 v55, v54, v53
	s_waitcnt vmcnt(5)
	v_mul_f16_sdwa v53, v57, v100 dst_sel:DWORD dst_unused:UNUSED_PAD src0_sel:DWORD src1_sel:WORD_1
	v_fma_f16 v58, v56, v100, -v53
	ds_read2_b32 v[53:54], v64 offset0:200 offset1:225
	v_mul_f16_sdwa v56, v56, v100 dst_sel:DWORD dst_unused:UNUSED_PAD src0_sel:DWORD src1_sel:WORD_1
	v_fma_f16 v56, v57, v100, v56
	v_pack_b32_f16 v56, v58, v56
	ds_write2_b32 v64, v55, v56 offset0:150 offset1:175
	s_waitcnt lgkmcnt(1)
	v_lshrrev_b32_e32 v55, 16, v53
	s_waitcnt vmcnt(4)
	v_mul_f16_sdwa v56, v55, v101 dst_sel:DWORD dst_unused:UNUSED_PAD src0_sel:DWORD src1_sel:WORD_1
	v_fma_f16 v56, v53, v101, -v56
	v_mul_f16_sdwa v53, v53, v101 dst_sel:DWORD dst_unused:UNUSED_PAD src0_sel:DWORD src1_sel:WORD_1
	v_lshrrev_b32_e32 v57, 16, v54
	v_fma_f16 v53, v55, v101, v53
	s_waitcnt vmcnt(3)
	v_mul_f16_sdwa v55, v57, v102 dst_sel:DWORD dst_unused:UNUSED_PAD src0_sel:DWORD src1_sel:WORD_1
	v_pack_b32_f16 v53, v56, v53
	v_fma_f16 v58, v54, v102, -v55
	ds_read2_b32 v[55:56], v61 offset0:122 offset1:147
	v_mul_f16_sdwa v54, v54, v102 dst_sel:DWORD dst_unused:UNUSED_PAD src0_sel:DWORD src1_sel:WORD_1
	v_fma_f16 v54, v57, v102, v54
	v_pack_b32_f16 v54, v58, v54
	ds_write2_b32 v64, v53, v54 offset0:200 offset1:225
	s_waitcnt lgkmcnt(1)
	v_lshrrev_b32_e32 v53, 16, v55
	s_waitcnt vmcnt(2)
	v_mul_f16_sdwa v54, v53, v103 dst_sel:DWORD dst_unused:UNUSED_PAD src0_sel:DWORD src1_sel:WORD_1
	v_fma_f16 v54, v55, v103, -v54
	v_mul_f16_sdwa v55, v55, v103 dst_sel:DWORD dst_unused:UNUSED_PAD src0_sel:DWORD src1_sel:WORD_1
	v_fma_f16 v53, v53, v103, v55
	v_pack_b32_f16 v53, v54, v53
	v_lshrrev_b32_e32 v54, 16, v56
	ds_read_b32 v57, v64 offset:1200
	s_waitcnt vmcnt(1)
	v_mul_f16_sdwa v55, v54, v104 dst_sel:DWORD dst_unused:UNUSED_PAD src0_sel:DWORD src1_sel:WORD_1
	v_fma_f16 v55, v56, v104, -v55
	v_mul_f16_sdwa v56, v56, v104 dst_sel:DWORD dst_unused:UNUSED_PAD src0_sel:DWORD src1_sel:WORD_1
	v_fma_f16 v54, v54, v104, v56
	v_pack_b32_f16 v54, v55, v54
	ds_write2_b32 v61, v53, v54 offset0:122 offset1:147
	s_waitcnt lgkmcnt(1)
	v_lshrrev_b32_e32 v53, 16, v57
	s_waitcnt vmcnt(0)
	v_mul_f16_sdwa v54, v53, v105 dst_sel:DWORD dst_unused:UNUSED_PAD src0_sel:DWORD src1_sel:WORD_1
	v_mul_f16_sdwa v55, v57, v105 dst_sel:DWORD dst_unused:UNUSED_PAD src0_sel:DWORD src1_sel:WORD_1
	v_fma_f16 v54, v57, v105, -v54
	v_fma_f16 v53, v53, v105, v55
	v_pack_b32_f16 v53, v54, v53
	ds_write_b32 v64, v53 offset:1200
	s_and_saveexec_b64 s[2:3], vcc
	s_cbranch_execz .LBB0_9
; %bb.8:
	v_mov_b32_e32 v54, s1
	v_add_co_u32_e64 v53, s[0:1], s0, v51
	v_addc_co_u32_e64 v54, s[0:1], 0, v54, s[0:1]
	global_load_dword v51, v[53:54], off offset:52
	global_load_dword v62, v[53:54], off offset:152
	;; [unrolled: 1-line block ×11, first 2 shown]
	ds_read_b32 v55, v79 offset:52
	global_load_dword v112, v[53:54], off offset:1152
	global_load_dword v113, v[53:54], off offset:1252
	s_waitcnt lgkmcnt(0)
	v_lshrrev_b32_e32 v53, 16, v55
	s_waitcnt vmcnt(12)
	v_mul_f16_sdwa v54, v53, v51 dst_sel:DWORD dst_unused:UNUSED_PAD src0_sel:DWORD src1_sel:WORD_1
	v_mul_f16_sdwa v56, v55, v51 dst_sel:DWORD dst_unused:UNUSED_PAD src0_sel:DWORD src1_sel:WORD_1
	v_fma_f16 v54, v55, v51, -v54
	v_fma_f16 v51, v53, v51, v56
	v_pack_b32_f16 v51, v54, v51
	ds_write_b32 v79, v51 offset:52
	ds_read2_b32 v[53:54], v64 offset0:38 offset1:63
	ds_read2_b32 v[55:56], v64 offset0:88 offset1:113
	;; [unrolled: 1-line block ×6, first 2 shown]
	s_waitcnt lgkmcnt(5)
	v_lshrrev_b32_e32 v51, 16, v53
	s_waitcnt vmcnt(11)
	v_mul_f16_sdwa v114, v53, v62 dst_sel:DWORD dst_unused:UNUSED_PAD src0_sel:DWORD src1_sel:WORD_1
	v_lshrrev_b32_e32 v115, 16, v54
	s_waitcnt vmcnt(10)
	v_mul_f16_sdwa v116, v54, v87 dst_sel:DWORD dst_unused:UNUSED_PAD src0_sel:DWORD src1_sel:WORD_1
	s_waitcnt lgkmcnt(4)
	v_lshrrev_b32_e32 v117, 16, v55
	s_waitcnt vmcnt(9)
	v_mul_f16_sdwa v118, v55, v104 dst_sel:DWORD dst_unused:UNUSED_PAD src0_sel:DWORD src1_sel:WORD_1
	v_lshrrev_b32_e32 v119, 16, v56
	s_waitcnt vmcnt(8)
	v_mul_f16_sdwa v120, v56, v105 dst_sel:DWORD dst_unused:UNUSED_PAD src0_sel:DWORD src1_sel:WORD_1
	;; [unrolled: 7-line block ×4, first 2 shown]
	s_waitcnt lgkmcnt(1)
	v_lshrrev_b32_e32 v129, 16, v100
	s_waitcnt vmcnt(3)
	v_mul_f16_sdwa v130, v100, v110 dst_sel:DWORD dst_unused:UNUSED_PAD src0_sel:DWORD src1_sel:WORD_1
	v_lshrrev_b32_e32 v131, 16, v101
	v_mul_f16_sdwa v133, v51, v62 dst_sel:DWORD dst_unused:UNUSED_PAD src0_sel:DWORD src1_sel:WORD_1
	v_fma_f16 v51, v51, v62, v114
	v_mul_f16_sdwa v114, v115, v87 dst_sel:DWORD dst_unused:UNUSED_PAD src0_sel:DWORD src1_sel:WORD_1
	s_waitcnt vmcnt(2)
	v_mul_f16_sdwa v132, v101, v111 dst_sel:DWORD dst_unused:UNUSED_PAD src0_sel:DWORD src1_sel:WORD_1
	v_fma_f16 v115, v115, v87, v116
	v_mul_f16_sdwa v116, v117, v104 dst_sel:DWORD dst_unused:UNUSED_PAD src0_sel:DWORD src1_sel:WORD_1
	v_fma_f16 v117, v117, v104, v118
	;; [unrolled: 2-line block ×8, first 2 shown]
	v_mul_f16_sdwa v130, v131, v111 dst_sel:DWORD dst_unused:UNUSED_PAD src0_sel:DWORD src1_sel:WORD_1
	v_fma_f16 v53, v53, v62, -v133
	v_fma_f16 v54, v54, v87, -v114
	v_fma_f16 v131, v131, v111, v132
	v_fma_f16 v55, v55, v104, -v116
	v_fma_f16 v56, v56, v105, -v118
	;; [unrolled: 1-line block ×8, first 2 shown]
	v_pack_b32_f16 v51, v53, v51
	v_pack_b32_f16 v53, v54, v115
	;; [unrolled: 1-line block ×10, first 2 shown]
	ds_write2_b32 v64, v51, v53 offset0:38 offset1:63
	ds_write2_b32 v64, v54, v55 offset0:88 offset1:113
	;; [unrolled: 1-line block ×5, first 2 shown]
	s_waitcnt lgkmcnt(5)
	v_lshrrev_b32_e32 v51, 16, v102
	s_waitcnt vmcnt(1)
	v_mul_f16_sdwa v53, v51, v112 dst_sel:DWORD dst_unused:UNUSED_PAD src0_sel:DWORD src1_sel:WORD_1
	v_mul_f16_sdwa v54, v102, v112 dst_sel:DWORD dst_unused:UNUSED_PAD src0_sel:DWORD src1_sel:WORD_1
	v_fma_f16 v53, v102, v112, -v53
	v_fma_f16 v51, v51, v112, v54
	v_pack_b32_f16 v51, v53, v51
	v_lshrrev_b32_e32 v53, 16, v103
	s_waitcnt vmcnt(0)
	v_mul_f16_sdwa v54, v53, v113 dst_sel:DWORD dst_unused:UNUSED_PAD src0_sel:DWORD src1_sel:WORD_1
	v_mul_f16_sdwa v55, v103, v113 dst_sel:DWORD dst_unused:UNUSED_PAD src0_sel:DWORD src1_sel:WORD_1
	v_fma_f16 v54, v103, v113, -v54
	v_fma_f16 v53, v53, v113, v55
	v_pack_b32_f16 v53, v54, v53
	ds_write2_b32 v52, v51, v53 offset0:32 offset1:57
.LBB0_9:
	s_or_b64 exec, exec, s[2:3]
	s_waitcnt lgkmcnt(0)
	; wave barrier
	s_waitcnt lgkmcnt(0)
	ds_read2_b32 v[51:52], v64 offset1:25
	ds_read2_b32 v[59:60], v64 offset0:50 offset1:75
	ds_read2_b32 v[55:56], v64 offset0:100 offset1:125
	;; [unrolled: 1-line block ×5, first 2 shown]
	ds_read_b32 v100, v64 offset:1200
	s_and_saveexec_b64 s[0:1], vcc
	s_cbranch_execz .LBB0_11
; %bb.10:
	v_add_u32_e32 v49, 0x400, v79
	ds_read2_b32 v[39:40], v79 offset0:13 offset1:38
	ds_read2_b32 v[41:42], v79 offset0:63 offset1:88
	;; [unrolled: 1-line block ×6, first 2 shown]
	ds_read_b32 v81, v79 offset:1252
	s_waitcnt lgkmcnt(6)
	v_lshrrev_b32_e32 v88, 16, v39
	v_lshrrev_b32_e32 v89, 16, v40
	s_waitcnt lgkmcnt(5)
	v_lshrrev_b32_e32 v90, 16, v41
	v_lshrrev_b32_e32 v91, 16, v42
	;; [unrolled: 3-line block ×6, first 2 shown]
	s_waitcnt lgkmcnt(0)
	v_lshrrev_b32_e32 v80, 16, v81
.LBB0_11:
	s_or_b64 exec, exec, s[0:1]
	s_waitcnt lgkmcnt(6)
	v_pk_add_f16 v101, v51, v52
	s_waitcnt lgkmcnt(5)
	v_pk_add_f16 v101, v101, v59
	v_pk_add_f16 v101, v101, v60
	s_waitcnt lgkmcnt(4)
	v_pk_add_f16 v101, v101, v55
	;; [unrolled: 3-line block ×6, first 2 shown]
	v_pk_add_f16 v52, v52, v100 neg_lo:[0,1] neg_hi:[0,1]
	s_mov_b32 s4, 0xb770
	v_pk_add_f16 v101, v101, v100
	v_pk_mul_f16 v100, v52, s4 op_sel_hi:[1,0]
	s_movk_i32 s2, 0x3b15
	s_mov_b32 s5, 0xba95
	v_pk_add_f16 v121, v62, v59
	v_pk_add_f16 v59, v59, v62 neg_lo:[0,1] neg_hi:[0,1]
	v_pk_fma_f16 v103, v102, s2, v100 op_sel:[0,0,1] op_sel_hi:[1,0,0]
	v_pk_fma_f16 v100, v102, s2, v100 op_sel:[0,0,1] op_sel_hi:[1,0,0] neg_lo:[0,0,1] neg_hi:[0,0,1]
	s_mov_b32 s0, 0xffff
	s_movk_i32 s3, 0x388b
	v_pk_mul_f16 v62, v59, s5 op_sel_hi:[1,0]
	v_bfi_b32 v104, s0, v103, v100
	v_pk_fma_f16 v122, v121, s3, v62 op_sel:[0,0,1] op_sel_hi:[1,0,0]
	v_pk_fma_f16 v62, v121, s3, v62 op_sel:[0,0,1] op_sel_hi:[1,0,0] neg_lo:[0,0,1] neg_hi:[0,0,1]
	v_pk_add_f16 v104, v51, v104
	v_mul_f16_sdwa v105, v52, s5 dst_sel:DWORD dst_unused:UNUSED_PAD src0_sel:WORD_1 src1_sel:DWORD
	v_bfi_b32 v123, s0, v122, v62
	v_fma_f16 v106, v102, s3, v105
	s_mov_b32 s14, 0xb5ac
	v_pk_add_f16 v104, v123, v104
	v_mul_f16_sdwa v123, v59, s15 dst_sel:DWORD dst_unused:UNUSED_PAD src0_sel:WORD_1 src1_sel:DWORD
	v_add_f16_e32 v106, v51, v106
	v_mul_f16_sdwa v107, v102, s3 dst_sel:DWORD dst_unused:UNUSED_PAD src0_sel:WORD_1 src1_sel:DWORD
	s_movk_i32 s22, 0x3a95
	v_fma_f16 v105, v102, s3, -v105
	v_fma_f16 v124, v121, s14, v123
	v_fma_f16 v108, v52, s22, v107
	v_add_f16_e32 v105, v51, v105
	v_fma_f16 v107, v52, s5, v107
	s_mov_b32 s13, 0xbbf1
	v_add_f16_e32 v106, v124, v106
	v_mul_f16_sdwa v124, v121, s14 dst_sel:DWORD dst_unused:UNUSED_PAD src0_sel:WORD_1 src1_sel:DWORD
	v_fma_f16 v123, v121, s14, -v123
	v_add_f16_sdwa v107, v51, v107 dst_sel:DWORD dst_unused:UNUSED_PAD src0_sel:WORD_1 src1_sel:DWORD
	v_mul_f16_sdwa v109, v52, s13 dst_sel:DWORD dst_unused:UNUSED_PAD src0_sel:WORD_1 src1_sel:DWORD
	s_movk_i32 s12, 0x2fb7
	v_add_f16_e32 v105, v123, v105
	v_fma_f16 v123, v59, s15, v124
	s_mov_b32 s20, 0xb3a8
	v_fma_f16 v110, v102, s12, v109
	s_movk_i32 s23, 0x3b7b
	v_add_f16_e32 v107, v123, v107
	v_mul_f16_sdwa v123, v59, s20 dst_sel:DWORD dst_unused:UNUSED_PAD src0_sel:WORD_1 src1_sel:DWORD
	s_mov_b32 s19, 0xbbc4
	v_add_f16_e32 v110, v51, v110
	v_mul_f16_sdwa v111, v102, s12 dst_sel:DWORD dst_unused:UNUSED_PAD src0_sel:WORD_1 src1_sel:DWORD
	s_movk_i32 s18, 0x3bf1
	v_fma_f16 v109, v102, s12, -v109
	v_fma_f16 v125, v59, s23, v124
	v_fma_f16 v124, v121, s19, v123
	;; [unrolled: 1-line block ×3, first 2 shown]
	v_add_f16_e32 v109, v51, v109
	v_fma_f16 v111, v52, s13, v111
	v_add_f16_e32 v110, v124, v110
	v_mul_f16_sdwa v124, v121, s19 dst_sel:DWORD dst_unused:UNUSED_PAD src0_sel:WORD_1 src1_sel:DWORD
	v_fma_f16 v123, v121, s19, -v123
	v_add_f16_sdwa v111, v51, v111 dst_sel:DWORD dst_unused:UNUSED_PAD src0_sel:WORD_1 src1_sel:DWORD
	v_mul_f16_sdwa v113, v52, s15 dst_sel:DWORD dst_unused:UNUSED_PAD src0_sel:WORD_1 src1_sel:DWORD
	s_movk_i32 s21, 0x394e
	v_add_f16_e32 v109, v123, v109
	v_fma_f16 v123, v59, s20, v124
	v_add_f16_sdwa v108, v51, v108 dst_sel:DWORD dst_unused:UNUSED_PAD src0_sel:WORD_1 src1_sel:DWORD
	v_fma_f16 v114, v102, s14, v113
	s_mov_b32 s16, 0xb9fd
	s_movk_i32 s24, 0x33a8
	v_add_f16_e32 v111, v123, v111
	v_mul_f16_sdwa v123, v59, s21 dst_sel:DWORD dst_unused:UNUSED_PAD src0_sel:WORD_1 src1_sel:DWORD
	v_add_f16_e32 v114, v51, v114
	v_mul_f16_sdwa v115, v102, s14 dst_sel:DWORD dst_unused:UNUSED_PAD src0_sel:WORD_1 src1_sel:DWORD
	v_fma_f16 v113, v102, s14, -v113
	v_add_f16_e32 v108, v125, v108
	v_fma_f16 v125, v59, s24, v124
	v_fma_f16 v124, v121, s16, v123
	;; [unrolled: 1-line block ×3, first 2 shown]
	v_add_f16_e32 v113, v51, v113
	v_fma_f16 v115, v52, s15, v115
	v_add_f16_e32 v114, v124, v114
	v_mul_f16_sdwa v124, v121, s16 dst_sel:DWORD dst_unused:UNUSED_PAD src0_sel:WORD_1 src1_sel:DWORD
	v_fma_f16 v123, v121, s16, -v123
	v_add_f16_sdwa v115, v51, v115 dst_sel:DWORD dst_unused:UNUSED_PAD src0_sel:WORD_1 src1_sel:DWORD
	v_mul_f16_sdwa v117, v52, s17 dst_sel:DWORD dst_unused:UNUSED_PAD src0_sel:WORD_1 src1_sel:DWORD
	v_add_f16_e32 v113, v123, v113
	v_fma_f16 v123, v59, s21, v124
	v_add_f16_sdwa v112, v51, v112 dst_sel:DWORD dst_unused:UNUSED_PAD src0_sel:WORD_1 src1_sel:DWORD
	v_fma_f16 v118, v102, s16, v117
	v_add_f16_e32 v115, v123, v115
	v_mul_f16_sdwa v123, v59, s18 dst_sel:DWORD dst_unused:UNUSED_PAD src0_sel:WORD_1 src1_sel:DWORD
	v_add_f16_e32 v118, v51, v118
	v_mul_f16_sdwa v119, v102, s16 dst_sel:DWORD dst_unused:UNUSED_PAD src0_sel:WORD_1 src1_sel:DWORD
	v_fma_f16 v117, v102, s16, -v117
	v_add_f16_e32 v112, v125, v112
	v_fma_f16 v125, v59, s17, v124
	v_fma_f16 v124, v121, s12, v123
	;; [unrolled: 1-line block ×3, first 2 shown]
	v_add_f16_e32 v117, v51, v117
	v_fma_f16 v119, v52, s17, v119
	v_add_f16_e32 v118, v124, v118
	v_mul_f16_sdwa v124, v121, s12 dst_sel:DWORD dst_unused:UNUSED_PAD src0_sel:WORD_1 src1_sel:DWORD
	v_fma_f16 v123, v121, s12, -v123
	v_add_f16_sdwa v119, v51, v119 dst_sel:DWORD dst_unused:UNUSED_PAD src0_sel:WORD_1 src1_sel:DWORD
	v_add_f16_e32 v117, v123, v117
	v_fma_f16 v123, v59, s18, v124
	v_add_f16_e32 v119, v123, v119
	v_pk_add_f16 v123, v61, v60
	v_pk_add_f16 v60, v60, v61 neg_lo:[0,1] neg_hi:[0,1]
	v_add_f16_sdwa v116, v51, v116 dst_sel:DWORD dst_unused:UNUSED_PAD src0_sel:WORD_1 src1_sel:DWORD
	v_pk_mul_f16 v61, v60, s13 op_sel_hi:[1,0]
	v_add_f16_sdwa v120, v51, v120 dst_sel:DWORD dst_unused:UNUSED_PAD src0_sel:WORD_1 src1_sel:DWORD
	v_add_f16_e32 v116, v125, v116
	v_fma_f16 v125, v59, s13, v124
	v_pk_fma_f16 v124, v123, s12, v61 op_sel:[0,0,1] op_sel_hi:[1,0,0]
	v_pk_fma_f16 v61, v123, s12, v61 op_sel:[0,0,1] op_sel_hi:[1,0,0] neg_lo:[0,0,1] neg_hi:[0,0,1]
	v_add_f16_e32 v120, v125, v120
	v_bfi_b32 v125, s0, v124, v61
	v_pk_add_f16 v104, v125, v104
	v_mul_f16_sdwa v125, v60, s20 dst_sel:DWORD dst_unused:UNUSED_PAD src0_sel:WORD_1 src1_sel:DWORD
	v_fma_f16 v126, v123, s19, v125
	v_add_f16_e32 v106, v126, v106
	v_mul_f16_sdwa v126, v123, s19 dst_sel:DWORD dst_unused:UNUSED_PAD src0_sel:WORD_1 src1_sel:DWORD
	v_fma_f16 v125, v123, s19, -v125
	v_add_f16_e32 v105, v125, v105
	v_fma_f16 v125, v60, s20, v126
	v_add_f16_e32 v107, v125, v107
	v_mul_f16_sdwa v125, v60, s23 dst_sel:DWORD dst_unused:UNUSED_PAD src0_sel:WORD_1 src1_sel:DWORD
	v_fma_f16 v127, v60, s24, v126
	v_fma_f16 v126, v123, s14, v125
	v_add_f16_e32 v110, v126, v110
	v_mul_f16_sdwa v126, v123, s14 dst_sel:DWORD dst_unused:UNUSED_PAD src0_sel:WORD_1 src1_sel:DWORD
	v_fma_f16 v125, v123, s14, -v125
	v_add_f16_e32 v109, v125, v109
	v_fma_f16 v125, v60, s23, v126
	v_add_f16_e32 v111, v125, v111
	v_mul_f16_sdwa v125, v60, s25 dst_sel:DWORD dst_unused:UNUSED_PAD src0_sel:WORD_1 src1_sel:DWORD
	v_add_f16_e32 v108, v127, v108
	v_fma_f16 v127, v60, s15, v126
	v_fma_f16 v126, v123, s2, v125
	v_add_f16_e32 v114, v126, v114
	v_mul_f16_sdwa v126, v123, s2 dst_sel:DWORD dst_unused:UNUSED_PAD src0_sel:WORD_1 src1_sel:DWORD
	v_fma_f16 v125, v123, s2, -v125
	v_add_f16_e32 v113, v125, v113
	v_fma_f16 v125, v60, s25, v126
	v_add_f16_e32 v115, v125, v115
	v_mul_f16_sdwa v125, v60, s5 dst_sel:DWORD dst_unused:UNUSED_PAD src0_sel:WORD_1 src1_sel:DWORD
	v_add_f16_e32 v112, v127, v112
	v_fma_f16 v127, v60, s4, v126
	v_fma_f16 v126, v123, s3, v125
	v_add_f16_e32 v118, v126, v118
	v_mul_f16_sdwa v126, v123, s3 dst_sel:DWORD dst_unused:UNUSED_PAD src0_sel:WORD_1 src1_sel:DWORD
	v_fma_f16 v125, v123, s3, -v125
	v_add_f16_e32 v117, v125, v117
	v_fma_f16 v125, v60, s5, v126
	v_add_f16_e32 v119, v125, v119
	v_pk_add_f16 v125, v58, v55
	v_pk_add_f16 v55, v55, v58 neg_lo:[0,1] neg_hi:[0,1]
	v_pk_mul_f16 v58, v55, s15 op_sel_hi:[1,0]
	v_add_f16_e32 v116, v127, v116
	v_fma_f16 v127, v60, s22, v126
	v_pk_fma_f16 v126, v125, s14, v58 op_sel:[0,0,1] op_sel_hi:[1,0,0]
	v_pk_fma_f16 v58, v125, s14, v58 op_sel:[0,0,1] op_sel_hi:[1,0,0] neg_lo:[0,0,1] neg_hi:[0,0,1]
	v_add_f16_e32 v120, v127, v120
	v_bfi_b32 v127, s0, v126, v58
	v_pk_add_f16 v104, v127, v104
	v_mul_f16_sdwa v127, v55, s21 dst_sel:DWORD dst_unused:UNUSED_PAD src0_sel:WORD_1 src1_sel:DWORD
	v_fma_f16 v128, v125, s16, v127
	v_add_f16_e32 v106, v128, v106
	v_mul_f16_sdwa v128, v125, s16 dst_sel:DWORD dst_unused:UNUSED_PAD src0_sel:WORD_1 src1_sel:DWORD
	v_fma_f16 v127, v125, s16, -v127
	v_add_f16_e32 v105, v127, v105
	v_fma_f16 v127, v55, s21, v128
	v_add_f16_e32 v107, v127, v107
	v_mul_f16_sdwa v127, v55, s25 dst_sel:DWORD dst_unused:UNUSED_PAD src0_sel:WORD_1 src1_sel:DWORD
	v_fma_f16 v129, v55, s17, v128
	v_fma_f16 v128, v125, s2, v127
	v_add_f16_e32 v110, v128, v110
	v_mul_f16_sdwa v128, v125, s2 dst_sel:DWORD dst_unused:UNUSED_PAD src0_sel:WORD_1 src1_sel:DWORD
	v_fma_f16 v127, v125, s2, -v127
	v_add_f16_e32 v109, v127, v109
	v_fma_f16 v127, v55, s25, v128
	v_add_f16_e32 v111, v127, v111
	v_mul_f16_sdwa v127, v55, s13 dst_sel:DWORD dst_unused:UNUSED_PAD src0_sel:WORD_1 src1_sel:DWORD
	v_add_f16_e32 v108, v129, v108
	v_fma_f16 v129, v55, s4, v128
	v_fma_f16 v128, v125, s12, v127
	v_add_f16_e32 v114, v128, v114
	v_mul_f16_sdwa v128, v125, s12 dst_sel:DWORD dst_unused:UNUSED_PAD src0_sel:WORD_1 src1_sel:DWORD
	v_fma_f16 v127, v125, s12, -v127
	v_add_f16_e32 v113, v127, v113
	v_fma_f16 v127, v55, s13, v128
	v_add_f16_e32 v115, v127, v115
	v_mul_f16_sdwa v127, v55, s24 dst_sel:DWORD dst_unused:UNUSED_PAD src0_sel:WORD_1 src1_sel:DWORD
	v_add_f16_e32 v112, v129, v112
	v_fma_f16 v129, v55, s18, v128
	v_fma_f16 v128, v125, s19, v127
	v_add_f16_e32 v118, v128, v118
	v_mul_f16_sdwa v128, v125, s19 dst_sel:DWORD dst_unused:UNUSED_PAD src0_sel:WORD_1 src1_sel:DWORD
	v_fma_f16 v127, v125, s19, -v127
	v_add_f16_e32 v117, v127, v117
	v_fma_f16 v127, v55, s24, v128
	v_add_f16_e32 v119, v127, v119
	v_pk_add_f16 v127, v57, v56
	v_pk_add_f16 v56, v56, v57 neg_lo:[0,1] neg_hi:[0,1]
	v_pk_mul_f16 v57, v56, s17 op_sel_hi:[1,0]
	;; [unrolled: 47-line block ×3, first 2 shown]
	v_add_f16_e32 v116, v131, v116
	v_fma_f16 v131, v56, s4, v130
	v_pk_fma_f16 v130, v129, s19, v54 op_sel:[0,0,1] op_sel_hi:[1,0,0]
	v_pk_fma_f16 v54, v129, s19, v54 op_sel:[0,0,1] op_sel_hi:[1,0,0] neg_lo:[0,0,1] neg_hi:[0,0,1]
	v_add_f16_e32 v120, v131, v120
	v_bfi_b32 v131, s0, v130, v54
	v_pk_add_f16 v104, v131, v104
	v_mul_f16_sdwa v131, v53, s25 dst_sel:DWORD dst_unused:UNUSED_PAD src0_sel:WORD_1 src1_sel:DWORD
	v_fma_f16 v132, v129, s2, v131
	v_add_f16_e32 v106, v132, v106
	v_mul_f16_sdwa v132, v129, s2 dst_sel:DWORD dst_unused:UNUSED_PAD src0_sel:WORD_1 src1_sel:DWORD
	v_fma_f16 v131, v129, s2, -v131
	v_add_f16_e32 v105, v131, v105
	v_fma_f16 v131, v53, s25, v132
	v_add_f16_e32 v107, v131, v107
	v_mul_f16_sdwa v131, v53, s17 dst_sel:DWORD dst_unused:UNUSED_PAD src0_sel:WORD_1 src1_sel:DWORD
	v_fma_f16 v133, v53, s4, v132
	v_fma_f16 v132, v129, s16, v131
	v_add_f16_e32 v110, v132, v110
	v_mul_f16_sdwa v132, v129, s16 dst_sel:DWORD dst_unused:UNUSED_PAD src0_sel:WORD_1 src1_sel:DWORD
	v_fma_f16 v131, v129, s16, -v131
	v_add_f16_e32 v109, v131, v109
	v_fma_f16 v131, v53, s17, v132
	v_add_f16_e32 v111, v131, v111
	v_mul_f16_sdwa v131, v53, s22 dst_sel:DWORD dst_unused:UNUSED_PAD src0_sel:WORD_1 src1_sel:DWORD
	v_add_f16_e32 v108, v133, v108
	v_fma_f16 v133, v53, s21, v132
	v_fma_f16 v132, v129, s3, v131
	v_add_f16_e32 v114, v132, v114
	v_mul_f16_sdwa v132, v129, s3 dst_sel:DWORD dst_unused:UNUSED_PAD src0_sel:WORD_1 src1_sel:DWORD
	v_fma_f16 v131, v129, s3, -v131
	v_add_f16_e32 v113, v131, v113
	v_fma_f16 v131, v53, s22, v132
	v_add_f16_e32 v115, v131, v115
	v_mul_f16_sdwa v131, v53, s15 dst_sel:DWORD dst_unused:UNUSED_PAD src0_sel:WORD_1 src1_sel:DWORD
	v_add_f16_e32 v112, v133, v112
	v_fma_f16 v133, v53, s5, v132
	v_fma_f16 v132, v129, s14, v131
	v_add_f16_e32 v118, v132, v118
	v_mul_f16_sdwa v132, v129, s14 dst_sel:DWORD dst_unused:UNUSED_PAD src0_sel:WORD_1 src1_sel:DWORD
	v_add_f16_e32 v116, v133, v116
	v_fma_f16 v133, v53, s23, v132
	s_waitcnt lgkmcnt(0)
	; wave barrier
	v_add_f16_e32 v120, v133, v120
	ds_write2_b32 v82, v101, v104 offset1:1
	v_pack_b32_f16 v101, v110, v112
	v_pack_b32_f16 v104, v106, v108
	ds_write2_b32 v82, v104, v101 offset0:2 offset1:3
	v_pack_b32_f16 v101, v118, v120
	v_pack_b32_f16 v104, v114, v116
	ds_write2_b32 v82, v104, v101 offset0:4 offset1:5
	v_pk_mul_f16 v101, v102, s19 op_sel_hi:[1,0]
	v_pk_fma_f16 v102, v52, s20, v101 op_sel:[0,0,1] op_sel_hi:[1,0,0]
	v_pk_fma_f16 v52, v52, s20, v101 op_sel:[0,0,1] op_sel_hi:[1,0,0] neg_lo:[1,0,0] neg_hi:[1,0,0]
	v_alignbit_b32 v101, s0, v51, 16
	v_alignbit_b32 v104, s0, v102, 16
	v_pk_add_f16 v101, v101, v102
	v_pk_mul_f16 v102, v121, s2 op_sel_hi:[1,0]
	v_pk_add_f16 v52, v51, v52 op_sel:[1,0] op_sel_hi:[0,1]
	v_pk_fma_f16 v106, v59, s25, v102 op_sel:[0,0,1] op_sel_hi:[1,0,0]
	v_pk_fma_f16 v59, v59, s25, v102 op_sel:[0,0,1] op_sel_hi:[1,0,0] neg_lo:[1,0,0] neg_hi:[1,0,0]
	v_pk_add_f16 v52, v59, v52
	v_pk_add_f16 v59, v106, v101
	v_pk_mul_f16 v101, v123, s16 op_sel_hi:[1,0]
	v_pk_fma_f16 v102, v60, s17, v101 op_sel:[0,0,1] op_sel_hi:[1,0,0]
	v_pk_fma_f16 v60, v60, s17, v101 op_sel:[0,0,1] op_sel_hi:[1,0,0] neg_lo:[1,0,0] neg_hi:[1,0,0]
	v_pk_add_f16 v52, v60, v52
	v_pk_mul_f16 v60, v125, s3 op_sel_hi:[1,0]
	v_pk_add_f16 v59, v102, v59
	v_pk_fma_f16 v101, v55, s22, v60 op_sel:[0,0,1] op_sel_hi:[1,0,0]
	v_pk_fma_f16 v55, v55, s22, v60 op_sel:[0,0,1] op_sel_hi:[1,0,0] neg_lo:[1,0,0] neg_hi:[1,0,0]
	v_pk_add_f16 v104, v51, v104
	v_alignbit_b32 v108, s0, v106, 16
	v_pk_add_f16 v52, v55, v52
	v_pk_add_f16 v55, v101, v59
	v_pk_mul_f16 v59, v127, s14 op_sel_hi:[1,0]
	v_pk_add_f16 v104, v108, v104
	v_alignbit_b32 v106, s0, v102, 16
	v_pk_fma_f16 v60, v56, s15, v59 op_sel:[0,0,1] op_sel_hi:[1,0,0]
	v_pk_fma_f16 v56, v56, s15, v59 op_sel:[0,0,1] op_sel_hi:[1,0,0] neg_lo:[1,0,0] neg_hi:[1,0,0]
	v_pk_add_f16 v104, v106, v104
	v_alignbit_b32 v102, s0, v101, 16
	v_pk_add_f16 v52, v56, v52
	v_pk_mul_f16 v56, v129, s12 op_sel_hi:[1,0]
	v_fma_f16 v131, v129, s14, -v131
	v_pk_add_f16 v102, v102, v104
	v_alignbit_b32 v101, s0, v60, 16
	v_pk_fma_f16 v59, v53, s18, v56 op_sel:[0,0,1] op_sel_hi:[1,0,0]
	v_add_f16_e32 v117, v131, v117
	v_fma_f16 v131, v53, s15, v132
	v_pk_add_f16 v101, v101, v102
	v_pk_add_f16 v55, v60, v55
	v_alignbit_b32 v60, s0, v59, 16
	v_pk_fma_f16 v53, v53, s18, v56 op_sel:[0,0,1] op_sel_hi:[1,0,0] neg_lo:[1,0,0] neg_hi:[1,0,0]
	v_pk_add_f16 v60, v60, v101
	v_pk_add_f16 v52, v53, v52
	;; [unrolled: 1-line block ×3, first 2 shown]
	v_add_f16_e32 v119, v131, v119
	v_alignbit_b32 v53, v53, v52, 16
	v_pack_b32_f16 v52, v60, v52
	ds_write2_b32 v82, v52, v53 offset0:6 offset1:7
	v_pack_b32_f16 v52, v113, v115
	v_pack_b32_f16 v53, v117, v119
	ds_write2_b32 v82, v53, v52 offset0:8 offset1:9
	v_pack_b32_f16 v52, v105, v107
	v_pack_b32_f16 v53, v109, v111
	ds_write2_b32 v82, v53, v52 offset0:10 offset1:11
	v_bfi_b32 v52, s0, v100, v103
	v_pk_add_f16 v51, v51, v52
	v_bfi_b32 v52, s0, v62, v122
	v_pk_add_f16 v51, v52, v51
	;; [unrolled: 2-line block ×5, first 2 shown]
	v_bfi_b32 v52, s0, v54, v130
	v_add_u32_e32 v87, 0xd0, v64
	v_pk_add_f16 v51, v52, v51
	ds_write_b32 v82, v51 offset:48
	s_and_saveexec_b64 s[0:1], vcc
	s_cbranch_execz .LBB0_13
; %bb.12:
	v_add_f16_e32 v51, v80, v89
	v_mul_f16_e32 v52, 0xbbc4, v51
	v_sub_f16_e32 v53, v40, v81
	v_add_f16_e32 v55, v97, v90
	v_fma_f16 v54, v53, s24, v52
	v_mul_f16_e32 v56, 0x3b15, v55
	v_sub_f16_e32 v57, v41, v50
	v_add_f16_e32 v54, v88, v54
	v_fma_f16 v58, v57, s4, v56
	v_add_f16_e32 v54, v58, v54
	v_add_f16_e32 v58, v99, v91
	v_mul_f16_e32 v59, 0xb9fd, v58
	v_sub_f16_e32 v60, v42, v49
	v_fma_f16 v61, v60, s21, v59
	v_add_f16_e32 v54, v61, v54
	v_add_f16_e32 v61, v98, v93
	v_mul_f16_e32 v62, 0x388b, v61
	v_sub_f16_e32 v82, v45, v48
	v_fma_f16 v100, v82, s5, v62
	v_add_f16_e32 v54, v100, v54
	v_add_f16_e32 v100, v96, v94
	v_mul_f16_e32 v101, 0xb5ac, v100
	v_sub_f16_e32 v102, v46, v47
	v_fma_f16 v103, v102, s23, v101
	v_add_f16_e32 v54, v103, v54
	v_add_f16_e32 v103, v95, v92
	v_mul_f16_e32 v104, 0x2fb7, v103
	v_sub_f16_e32 v105, v43, v44
	v_fma_f16 v106, v105, s13, v104
	v_sub_f16_e32 v107, v89, v80
	v_add_f16_e32 v54, v106, v54
	v_add_f16_e32 v106, v81, v40
	v_mul_f16_e32 v108, 0xb3a8, v107
	v_sub_f16_e32 v111, v90, v97
	v_fma_f16 v109, v106, s19, v108
	v_add_f16_e32 v110, v50, v41
	v_mul_f16_e32 v112, 0x3770, v111
	v_add_f16_e32 v109, v39, v109
	v_fma_f16 v113, v110, s2, v112
	v_sub_f16_e32 v114, v91, v99
	v_add_f16_e32 v109, v113, v109
	v_add_f16_e32 v113, v49, v42
	v_mul_f16_e32 v115, 0xb94e, v114
	v_fma_f16 v116, v113, s16, v115
	v_sub_f16_e32 v117, v93, v98
	v_add_f16_e32 v109, v116, v109
	v_add_f16_e32 v116, v48, v45
	v_mul_f16_e32 v118, 0x3a95, v117
	;; [unrolled: 5-line block ×4, first 2 shown]
	v_fma_f16 v125, v122, s12, v124
	v_add_f16_e32 v109, v125, v109
	v_mul_f16_e32 v125, 0xb9fd, v51
	v_fma_f16 v126, v53, s21, v125
	v_mul_f16_e32 v127, 0x2fb7, v55
	v_add_f16_e32 v126, v88, v126
	v_fma_f16 v128, v57, s13, v127
	v_add_f16_e32 v126, v128, v126
	v_mul_f16_e32 v128, 0x388b, v58
	v_fma_f16 v129, v60, s22, v128
	v_add_f16_e32 v126, v129, v126
	v_mul_f16_e32 v129, 0xbbc4, v61
	v_fma_f16 v130, v82, s20, v129
	v_add_f16_e32 v126, v130, v126
	v_mul_f16_e32 v130, 0x3b15, v100
	v_fma_f16 v131, v102, s4, v130
	v_add_f16_e32 v126, v131, v126
	v_mul_f16_e32 v131, 0xb5ac, v103
	v_fma_f16 v132, v105, s23, v131
	v_add_f16_e32 v126, v132, v126
	v_mul_f16_e32 v132, 0xb94e, v107
	v_fma_f16 v133, v106, s16, v132
	v_mul_f16_e32 v134, 0x3bf1, v111
	v_add_f16_e32 v133, v39, v133
	v_fma_f16 v135, v110, s12, v134
	v_add_f16_e32 v133, v135, v133
	v_mul_f16_e32 v135, 0xba95, v114
	v_fma_f16 v136, v113, s3, v135
	v_add_f16_e32 v133, v136, v133
	v_mul_f16_e32 v136, 0x33a8, v117
	v_fma_f16 v137, v116, s19, v136
	v_add_f16_e32 v133, v137, v133
	v_mul_f16_e32 v137, 0x3770, v120
	v_fma_f16 v138, v119, s2, v137
	v_add_f16_e32 v133, v138, v133
	v_mul_f16_e32 v138, 0xbb7b, v123
	;; [unrolled: 18-line block ×3, first 2 shown]
	v_fma_f16 v146, v105, s5, v145
	v_add_f16_e32 v140, v146, v140
	v_mul_f16_e32 v146, 0xbb7b, v107
	v_fma_f16 v147, v106, s14, v146
	v_mul_f16_e32 v148, 0x394e, v111
	v_add_f16_e32 v147, v39, v147
	v_fma_f16 v149, v110, s16, v148
	v_add_f16_e32 v147, v149, v147
	v_mul_f16_e32 v149, 0x3770, v114
	v_fma_f16 v150, v113, s2, v149
	v_add_f16_e32 v40, v40, v39
	v_add_f16_e32 v147, v150, v147
	v_mul_f16_e32 v150, 0xbbf1, v117
	v_add_f16_e32 v40, v41, v40
	v_fma_f16 v151, v116, s12, v150
	v_add_f16_e32 v40, v42, v40
	v_add_f16_e32 v147, v151, v147
	v_mul_f16_e32 v151, 0x33a8, v120
	v_add_f16_e32 v40, v45, v40
	v_fma_f16 v152, v119, s19, v151
	v_add_f16_e32 v40, v46, v40
	v_fma_f16 v42, v53, s20, v52
	v_add_f16_e32 v147, v152, v147
	v_mul_f16_e32 v152, 0x3a95, v123
	v_add_f16_e32 v40, v43, v40
	v_add_f16_e32 v42, v88, v42
	v_fma_f16 v43, v57, s25, v56
	v_fma_f16 v153, v122, s3, v152
	v_add_f16_e32 v42, v43, v42
	v_fma_f16 v43, v60, s17, v59
	v_add_f16_e32 v147, v153, v147
	v_mul_f16_e32 v153, 0x2fb7, v51
	v_add_f16_e32 v42, v43, v42
	v_fma_f16 v43, v82, s22, v62
	v_fma_f16 v154, v53, s18, v153
	v_mul_f16_e32 v155, 0xbbc4, v55
	v_add_f16_e32 v42, v43, v42
	v_fma_f16 v43, v102, s15, v101
	v_add_f16_e32 v154, v88, v154
	v_fma_f16 v156, v57, s24, v155
	;; [unrolled: 2-line block ×3, first 2 shown]
	v_add_f16_e32 v154, v156, v154
	v_mul_f16_e32 v156, 0xb5ac, v58
	v_add_f16_e32 v42, v43, v42
	v_fma_f16 v43, v106, s19, -v108
	v_fma_f16 v157, v60, s15, v156
	v_add_f16_e32 v40, v44, v40
	v_add_f16_e32 v43, v39, v43
	v_fma_f16 v44, v110, s2, -v112
	v_add_f16_e32 v154, v157, v154
	v_mul_f16_e32 v157, 0x3b15, v61
	v_add_f16_e32 v43, v44, v43
	v_fma_f16 v44, v113, s16, -v115
	v_fma_f16 v158, v82, s4, v157
	v_add_f16_e32 v43, v44, v43
	v_fma_f16 v44, v116, s3, -v118
	v_add_f16_e32 v154, v158, v154
	v_mul_f16_e32 v158, 0x388b, v100
	v_add_f16_e32 v43, v44, v43
	v_fma_f16 v44, v119, s14, -v121
	v_fma_f16 v159, v102, s22, v158
	v_add_f16_e32 v43, v44, v43
	v_fma_f16 v44, v122, s12, -v124
	v_add_f16_e32 v154, v159, v154
	v_mul_f16_e32 v159, 0xb9fd, v103
	v_add_f16_e32 v43, v44, v43
	v_fma_f16 v44, v53, s17, v125
	v_fma_f16 v160, v105, s21, v159
	v_add_f16_e32 v44, v88, v44
	v_fma_f16 v45, v57, s18, v127
	v_add_f16_e32 v154, v160, v154
	v_mul_f16_e32 v160, 0xbbf1, v107
	v_add_f16_e32 v44, v45, v44
	v_fma_f16 v45, v60, s5, v128
	v_fma_f16 v161, v106, s12, v160
	v_mul_f16_e32 v162, 0xb3a8, v111
	v_add_f16_e32 v44, v45, v44
	v_fma_f16 v45, v82, s24, v129
	v_add_f16_e32 v161, v39, v161
	v_fma_f16 v163, v110, s19, v162
	;; [unrolled: 2-line block ×3, first 2 shown]
	v_add_f16_e32 v161, v163, v161
	v_mul_f16_e32 v163, 0x3b7b, v114
	v_add_f16_e32 v44, v45, v44
	v_fma_f16 v45, v105, s15, v131
	v_fma_f16 v164, v113, s14, v163
	v_add_f16_e32 v44, v45, v44
	v_fma_f16 v45, v106, s16, -v132
	v_add_f16_e32 v161, v164, v161
	v_mul_f16_e32 v164, 0x3770, v117
	v_add_f16_e32 v45, v39, v45
	v_fma_f16 v46, v110, s12, -v134
	v_fma_f16 v165, v116, s2, v164
	v_add_f16_e32 v45, v46, v45
	v_fma_f16 v46, v113, s3, -v135
	v_add_f16_e32 v161, v165, v161
	v_mul_f16_e32 v165, 0xba95, v120
	v_add_f16_e32 v45, v46, v45
	v_fma_f16 v46, v116, s19, -v136
	;; [unrolled: 7-line block ×3, first 2 shown]
	v_fma_f16 v167, v122, s16, v166
	v_add_f16_e32 v45, v46, v45
	v_fma_f16 v46, v53, s15, v139
	v_add_f16_e32 v161, v167, v161
	v_mul_f16_e32 v167, 0x388b, v51
	v_add_f16_e32 v40, v47, v40
	v_add_f16_e32 v46, v88, v46
	v_fma_f16 v47, v57, s21, v141
	v_fma_f16 v168, v53, s22, v167
	v_mul_f16_e32 v169, 0xb5ac, v55
	v_add_f16_e32 v46, v47, v46
	v_fma_f16 v47, v60, s25, v142
	v_add_f16_e32 v168, v88, v168
	v_fma_f16 v170, v57, s23, v169
	;; [unrolled: 2-line block ×3, first 2 shown]
	v_add_f16_e32 v168, v170, v168
	v_mul_f16_e32 v170, 0xbbc4, v58
	v_add_f16_e32 v46, v47, v46
	v_fma_f16 v47, v102, s24, v144
	v_fma_f16 v171, v60, s24, v170
	v_add_f16_e32 v46, v47, v46
	v_fma_f16 v47, v105, s22, v145
	v_add_f16_e32 v168, v171, v168
	v_mul_f16_e32 v171, 0xb9fd, v61
	v_add_f16_e32 v46, v47, v46
	v_fma_f16 v47, v106, s14, -v146
	v_fma_f16 v172, v82, s17, v171
	v_add_f16_e32 v40, v48, v40
	v_add_f16_e32 v47, v39, v47
	v_fma_f16 v48, v110, s16, -v148
	v_add_f16_e32 v168, v172, v168
	v_mul_f16_e32 v172, 0x2fb7, v100
	v_add_f16_e32 v47, v48, v47
	v_fma_f16 v48, v113, s2, -v149
	v_fma_f16 v173, v102, s13, v172
	v_add_f16_e32 v47, v48, v47
	v_fma_f16 v48, v116, s12, -v150
	v_add_f16_e32 v168, v173, v168
	v_mul_f16_e32 v173, 0x3b15, v103
	v_add_f16_e32 v47, v48, v47
	v_fma_f16 v48, v119, s19, -v151
	v_fma_f16 v174, v105, s4, v173
	v_add_f16_e32 v47, v48, v47
	v_fma_f16 v48, v122, s3, -v152
	v_add_f16_e32 v168, v174, v168
	v_mul_f16_e32 v174, 0xba95, v107
	v_add_f16_e32 v47, v48, v47
	v_fma_f16 v48, v53, s13, v153
	v_fma_f16 v175, v106, s3, v174
	v_mul_f16_e32 v176, 0xbb7b, v111
	v_add_f16_e32 v40, v49, v40
	v_add_f16_e32 v48, v88, v48
	v_fma_f16 v49, v57, s20, v155
	v_add_f16_e32 v175, v39, v175
	v_fma_f16 v177, v110, s14, v176
	;; [unrolled: 2-line block ×3, first 2 shown]
	v_add_f16_e32 v175, v177, v175
	v_mul_f16_e32 v177, 0xb3a8, v114
	v_add_f16_e32 v48, v49, v48
	v_fma_f16 v49, v82, s25, v157
	v_fma_f16 v178, v113, s19, v177
	v_add_f16_e32 v48, v49, v48
	v_fma_f16 v49, v102, s5, v158
	v_add_f16_e32 v175, v178, v175
	v_mul_f16_e32 v178, 0x394e, v117
	v_add_f16_e32 v48, v49, v48
	v_fma_f16 v49, v105, s17, v159
	v_fma_f16 v179, v116, s16, v178
	v_add_f16_e32 v48, v49, v48
	v_fma_f16 v49, v106, s12, -v160
	v_add_f16_e32 v175, v179, v175
	v_mul_f16_e32 v179, 0x3bf1, v120
	v_add_f16_e32 v40, v50, v40
	v_add_f16_e32 v49, v39, v49
	v_fma_f16 v50, v110, s19, -v162
	v_fma_f16 v180, v119, s12, v179
	v_add_f16_e32 v49, v50, v49
	v_fma_f16 v50, v113, s14, -v163
	v_add_f16_e32 v175, v180, v175
	v_mul_f16_e32 v180, 0x3770, v123
	v_add_f16_e32 v49, v50, v49
	v_fma_f16 v50, v116, s2, -v164
	v_fma_f16 v181, v122, s2, v180
	v_mul_f16_e32 v51, 0x3b15, v51
	v_add_f16_e32 v49, v50, v49
	v_fma_f16 v50, v119, s3, -v165
	v_add_f16_e32 v175, v181, v175
	v_fma_f16 v181, v53, s25, v51
	v_mul_f16_e32 v55, 0x388b, v55
	v_add_f16_e32 v49, v50, v49
	v_fma_f16 v50, v122, s16, -v166
	v_add_f16_e32 v181, v88, v181
	v_fma_f16 v182, v57, s22, v55
	v_mul_f16_e32 v58, 0x2fb7, v58
	v_add_f16_e32 v41, v89, v88
	v_add_f16_e32 v49, v50, v49
	v_fma_f16 v50, v53, s5, v167
	v_fma_f16 v51, v53, s4, v51
	v_add_f16_e32 v181, v182, v181
	v_fma_f16 v182, v60, s18, v58
	v_mul_f16_e32 v61, 0xb5ac, v61
	v_add_f16_e32 v41, v90, v41
	v_add_f16_e32 v50, v88, v50
	v_fma_f16 v52, v57, s15, v169
	v_add_f16_e32 v51, v88, v51
	v_fma_f16 v53, v57, s5, v55
	v_add_f16_e32 v181, v182, v181
	v_fma_f16 v182, v82, s23, v61
	v_mul_f16_e32 v100, 0xb9fd, v100
	v_add_f16_e32 v41, v91, v41
	v_add_f16_e32 v50, v52, v50
	v_fma_f16 v52, v60, s20, v170
	v_add_f16_e32 v51, v53, v51
	;; [unrolled: 8-line block ×5, first 2 shown]
	v_fma_f16 v53, v105, s20, v103
	v_add_f16_e32 v182, v39, v182
	v_fma_f16 v183, v110, s3, v111
	v_mul_f16_e32 v114, 0xbbf1, v114
	v_add_f16_e32 v41, v95, v41
	v_add_f16_e32 v50, v52, v50
	v_fma_f16 v52, v106, s3, -v174
	v_add_f16_e32 v51, v53, v51
	v_fma_f16 v53, v106, s2, -v107
	v_add_f16_e32 v182, v183, v182
	v_fma_f16 v183, v113, s12, v114
	v_mul_f16_e32 v117, 0xbb7b, v117
	v_add_f16_e32 v41, v96, v41
	v_add_f16_e32 v52, v39, v52
	;; [unrolled: 1-line block ×3, first 2 shown]
	v_fma_f16 v53, v110, s3, -v111
	v_add_f16_e32 v182, v183, v182
	v_fma_f16 v183, v116, s14, v117
	v_mul_f16_e32 v120, 0xb94e, v120
	v_add_f16_e32 v41, v98, v41
	v_add_f16_e32 v39, v53, v39
	v_fma_f16 v53, v113, s12, -v114
	v_add_f16_e32 v182, v183, v182
	v_fma_f16 v183, v119, s16, v120
	v_mul_f16_e32 v123, 0xb3a8, v123
	v_add_f16_e32 v41, v99, v41
	v_add_f16_e32 v39, v53, v39
	v_fma_f16 v53, v116, s14, -v117
	v_add_f16_e32 v182, v183, v182
	v_fma_f16 v183, v122, s19, v123
	v_add_f16_e32 v41, v97, v41
	v_add_f16_e32 v39, v53, v39
	v_fma_f16 v53, v119, s16, -v120
	v_add_f16_e32 v182, v183, v182
	v_add_f16_e32 v40, v81, v40
	;; [unrolled: 1-line block ×3, first 2 shown]
	v_fma_f16 v56, v110, s14, -v176
	v_add_f16_e32 v39, v53, v39
	v_fma_f16 v53, v122, s19, -v123
	v_add_f16_e32 v52, v56, v52
	;; [unrolled: 2-line block ×3, first 2 shown]
	v_lshl_add_u32 v53, v83, 2, v78
	v_pack_b32_f16 v55, v182, v181
	v_pack_b32_f16 v40, v40, v41
	v_add_f16_e32 v52, v56, v52
	v_fma_f16 v56, v116, s16, -v178
	ds_write2_b32 v53, v40, v55 offset1:1
	v_pack_b32_f16 v40, v161, v154
	v_pack_b32_f16 v41, v175, v168
	v_add_f16_e32 v52, v56, v52
	v_fma_f16 v56, v119, s12, -v179
	ds_write2_b32 v53, v41, v40 offset0:2 offset1:3
	v_pack_b32_f16 v40, v133, v126
	v_pack_b32_f16 v41, v147, v140
	v_add_f16_e32 v52, v56, v52
	v_fma_f16 v56, v122, s2, -v180
	ds_write2_b32 v53, v41, v40 offset0:4 offset1:5
	v_pack_b32_f16 v40, v43, v42
	v_pack_b32_f16 v41, v109, v54
	v_add_f16_e32 v52, v56, v52
	ds_write2_b32 v53, v41, v40 offset0:6 offset1:7
	v_pack_b32_f16 v40, v47, v46
	v_pack_b32_f16 v41, v45, v44
	ds_write2_b32 v53, v41, v40 offset0:8 offset1:9
	v_pack_b32_f16 v40, v52, v50
	v_pack_b32_f16 v41, v49, v48
	;; [unrolled: 1-line block ×3, first 2 shown]
	ds_write2_b32 v53, v41, v40 offset0:10 offset1:11
	ds_write_b32 v53, v39 offset:48
.LBB0_13:
	s_or_b64 exec, exec, s[0:1]
	s_waitcnt lgkmcnt(0)
	; wave barrier
	s_waitcnt lgkmcnt(0)
	ds_read2_b32 v[40:41], v64 offset1:13
	ds_read2_b32 v[42:43], v64 offset0:52 offset1:65
	ds_read2_b32 v[44:45], v64 offset0:130 offset1:143
	;; [unrolled: 1-line block ×3, first 2 shown]
	v_add_u32_e32 v39, 0x400, v64
	ds_read2_b32 v[48:49], v39 offset0:4 offset1:17
	s_waitcnt lgkmcnt(3)
	v_lshrrev_b32_e32 v78, 16, v43
	v_mul_f16_sdwa v110, v0, v78 dst_sel:DWORD dst_unused:UNUSED_PAD src0_sel:WORD_1 src1_sel:DWORD
	s_waitcnt lgkmcnt(2)
	v_lshrrev_b32_e32 v82, 16, v44
	v_fma_f16 v110, v0, v43, v110
	v_mul_f16_sdwa v43, v0, v43 dst_sel:DWORD dst_unused:UNUSED_PAD src0_sel:WORD_1 src1_sel:DWORD
	ds_read2_b32 v[50:51], v64 offset0:78 offset1:91
	v_fma_f16 v43, v0, v78, -v43
	v_mul_f16_sdwa v78, v1, v82 dst_sel:DWORD dst_unused:UNUSED_PAD src0_sel:WORD_1 src1_sel:DWORD
	s_waitcnt lgkmcnt(2)
	v_lshrrev_b32_e32 v83, 16, v47
	v_fma_f16 v78, v1, v44, v78
	v_mul_f16_sdwa v44, v1, v44 dst_sel:DWORD dst_unused:UNUSED_PAD src0_sel:WORD_1 src1_sel:DWORD
	v_fma_f16 v44, v1, v82, -v44
	v_mul_f16_sdwa v82, v2, v83 dst_sel:DWORD dst_unused:UNUSED_PAD src0_sel:WORD_1 src1_sel:DWORD
	s_waitcnt lgkmcnt(1)
	v_lshrrev_b32_e32 v88, 16, v48
	v_fma_f16 v82, v2, v47, v82
	v_mul_f16_sdwa v47, v2, v47 dst_sel:DWORD dst_unused:UNUSED_PAD src0_sel:WORD_1 src1_sel:DWORD
	ds_read2_b32 v[52:53], v64 offset0:208 offset1:221
	v_fma_f16 v47, v2, v83, -v47
	v_mul_f16_sdwa v83, v3, v88 dst_sel:DWORD dst_unused:UNUSED_PAD src0_sel:WORD_1 src1_sel:DWORD
	s_waitcnt lgkmcnt(1)
	v_lshrrev_b32_e32 v90, 16, v50
	v_fma_f16 v83, v3, v48, v83
	v_mul_f16_sdwa v48, v3, v48 dst_sel:DWORD dst_unused:UNUSED_PAD src0_sel:WORD_1 src1_sel:DWORD
	v_fma_f16 v48, v3, v88, -v48
	v_mul_f16_sdwa v88, v0, v90 dst_sel:DWORD dst_unused:UNUSED_PAD src0_sel:WORD_1 src1_sel:DWORD
	v_lshrrev_b32_e32 v91, 16, v45
	v_fma_f16 v88, v0, v50, v88
	v_mul_f16_sdwa v50, v0, v50 dst_sel:DWORD dst_unused:UNUSED_PAD src0_sel:WORD_1 src1_sel:DWORD
	v_fma_f16 v0, v0, v90, -v50
	v_mul_f16_sdwa v50, v1, v91 dst_sel:DWORD dst_unused:UNUSED_PAD src0_sel:WORD_1 src1_sel:DWORD
	s_waitcnt lgkmcnt(0)
	v_lshrrev_b32_e32 v92, 16, v52
	v_fma_f16 v50, v1, v45, v50
	v_mul_f16_sdwa v45, v1, v45 dst_sel:DWORD dst_unused:UNUSED_PAD src0_sel:WORD_1 src1_sel:DWORD
	ds_read2_b32 v[56:57], v64 offset0:156 offset1:169
	v_fma_f16 v1, v1, v91, -v45
	v_mul_f16_sdwa v45, v2, v92 dst_sel:DWORD dst_unused:UNUSED_PAD src0_sel:WORD_1 src1_sel:DWORD
	v_lshrrev_b32_e32 v93, 16, v49
	v_fma_f16 v45, v2, v52, v45
	v_mul_f16_sdwa v52, v2, v52 dst_sel:DWORD dst_unused:UNUSED_PAD src0_sel:WORD_1 src1_sel:DWORD
	v_fma_f16 v2, v2, v92, -v52
	v_mul_f16_sdwa v52, v3, v93 dst_sel:DWORD dst_unused:UNUSED_PAD src0_sel:WORD_1 src1_sel:DWORD
	v_lshrrev_b32_e32 v95, 16, v51
	v_fma_f16 v52, v3, v49, v52
	v_mul_f16_sdwa v49, v3, v49 dst_sel:DWORD dst_unused:UNUSED_PAD src0_sel:WORD_1 src1_sel:DWORD
	ds_read2_b32 v[58:59], v39 offset0:30 offset1:43
	v_fma_f16 v3, v3, v93, -v49
	v_mul_f16_sdwa v49, v4, v95 dst_sel:DWORD dst_unused:UNUSED_PAD src0_sel:WORD_1 src1_sel:DWORD
	s_waitcnt lgkmcnt(1)
	v_lshrrev_b32_e32 v96, 16, v56
	v_fma_f16 v49, v4, v51, v49
	v_mul_f16_sdwa v51, v4, v51 dst_sel:DWORD dst_unused:UNUSED_PAD src0_sel:WORD_1 src1_sel:DWORD
	ds_read2_b32 v[60:61], v64 offset0:104 offset1:117
	v_fma_f16 v4, v4, v95, -v51
	v_mul_f16_sdwa v51, v5, v96 dst_sel:DWORD dst_unused:UNUSED_PAD src0_sel:WORD_1 src1_sel:DWORD
	v_lshrrev_b32_e32 v97, 16, v53
	v_fma_f16 v51, v5, v56, v51
	v_mul_f16_sdwa v56, v5, v56 dst_sel:DWORD dst_unused:UNUSED_PAD src0_sel:WORD_1 src1_sel:DWORD
	v_fma_f16 v5, v5, v96, -v56
	v_mul_f16_sdwa v56, v6, v97 dst_sel:DWORD dst_unused:UNUSED_PAD src0_sel:WORD_1 src1_sel:DWORD
	s_waitcnt lgkmcnt(1)
	v_lshrrev_b32_e32 v98, 16, v58
	v_fma_f16 v56, v6, v53, v56
	v_mul_f16_sdwa v53, v6, v53 dst_sel:DWORD dst_unused:UNUSED_PAD src0_sel:WORD_1 src1_sel:DWORD
	ds_read2_b32 v[80:81], v64 offset0:234 offset1:247
	v_fma_f16 v6, v6, v97, -v53
	v_mul_f16_sdwa v53, v7, v98 dst_sel:DWORD dst_unused:UNUSED_PAD src0_sel:WORD_1 src1_sel:DWORD
	s_waitcnt lgkmcnt(1)
	v_lshrrev_b32_e32 v100, 16, v60
	v_fma_f16 v53, v7, v58, v53
	v_mul_f16_sdwa v58, v7, v58 dst_sel:DWORD dst_unused:UNUSED_PAD src0_sel:WORD_1 src1_sel:DWORD
	v_fma_f16 v7, v7, v98, -v58
	v_mul_f16_sdwa v58, v8, v100 dst_sel:DWORD dst_unused:UNUSED_PAD src0_sel:WORD_1 src1_sel:DWORD
	v_lshrrev_b32_e32 v101, 16, v57
	v_fma_f16 v58, v8, v60, v58
	v_mul_f16_sdwa v60, v8, v60 dst_sel:DWORD dst_unused:UNUSED_PAD src0_sel:WORD_1 src1_sel:DWORD
	v_fma_f16 v8, v8, v100, -v60
	v_mul_f16_sdwa v60, v9, v101 dst_sel:DWORD dst_unused:UNUSED_PAD src0_sel:WORD_1 src1_sel:DWORD
	s_waitcnt lgkmcnt(0)
	v_lshrrev_b32_e32 v102, 16, v80
	v_fma_f16 v60, v9, v57, v60
	v_mul_f16_sdwa v57, v9, v57 dst_sel:DWORD dst_unused:UNUSED_PAD src0_sel:WORD_1 src1_sel:DWORD
	v_fma_f16 v9, v9, v101, -v57
	v_mul_f16_sdwa v57, v10, v102 dst_sel:DWORD dst_unused:UNUSED_PAD src0_sel:WORD_1 src1_sel:DWORD
	v_lshrrev_b32_e32 v103, 16, v59
	v_fma_f16 v57, v10, v80, v57
	v_mul_f16_sdwa v80, v10, v80 dst_sel:DWORD dst_unused:UNUSED_PAD src0_sel:WORD_1 src1_sel:DWORD
	v_fma_f16 v10, v10, v102, -v80
	v_mul_f16_sdwa v80, v11, v103 dst_sel:DWORD dst_unused:UNUSED_PAD src0_sel:WORD_1 src1_sel:DWORD
	v_lshrrev_b32_e32 v106, 16, v61
	v_fma_f16 v80, v11, v59, v80
	v_mul_f16_sdwa v59, v11, v59 dst_sel:DWORD dst_unused:UNUSED_PAD src0_sel:WORD_1 src1_sel:DWORD
	ds_read_b32 v104, v64 offset:1248
	v_fma_f16 v11, v11, v103, -v59
	v_mul_f16_sdwa v59, v12, v106 dst_sel:DWORD dst_unused:UNUSED_PAD src0_sel:WORD_1 src1_sel:DWORD
	v_lshrrev_b32_e32 v107, 16, v46
	v_fma_f16 v59, v12, v61, v59
	v_mul_f16_sdwa v61, v12, v61 dst_sel:DWORD dst_unused:UNUSED_PAD src0_sel:WORD_1 src1_sel:DWORD
	v_fma_f16 v12, v12, v106, -v61
	v_mul_f16_sdwa v61, v13, v107 dst_sel:DWORD dst_unused:UNUSED_PAD src0_sel:WORD_1 src1_sel:DWORD
	v_lshrrev_b32_e32 v108, 16, v81
	v_fma_f16 v61, v13, v46, v61
	v_mul_f16_sdwa v46, v13, v46 dst_sel:DWORD dst_unused:UNUSED_PAD src0_sel:WORD_1 src1_sel:DWORD
	v_add_f16_e32 v91, v78, v82
	v_fma_f16 v13, v13, v107, -v46
	v_mul_f16_sdwa v46, v14, v108 dst_sel:DWORD dst_unused:UNUSED_PAD src0_sel:WORD_1 src1_sel:DWORD
	v_fma_f16 v91, v91, -0.5, v40
	v_sub_f16_e32 v92, v43, v48
	s_mov_b32 s1, 0xbb9c
	s_movk_i32 s3, 0x3b9c
	s_waitcnt lgkmcnt(0)
	v_lshrrev_b32_e32 v109, 16, v104
	v_fma_f16 v46, v14, v81, v46
	v_mul_f16_sdwa v81, v14, v81 dst_sel:DWORD dst_unused:UNUSED_PAD src0_sel:WORD_1 src1_sel:DWORD
	v_fma_f16 v93, v92, s1, v91
	v_sub_f16_e32 v95, v44, v47
	s_mov_b32 s0, 0xb8b4
	v_sub_f16_e32 v96, v110, v78
	v_sub_f16_e32 v97, v83, v82
	v_fma_f16 v91, v92, s3, v91
	s_movk_i32 s4, 0x38b4
	v_fma_f16 v14, v14, v108, -v81
	v_mul_f16_sdwa v81, v15, v109 dst_sel:DWORD dst_unused:UNUSED_PAD src0_sel:WORD_1 src1_sel:DWORD
	v_mul_f16_sdwa v90, v15, v104 dst_sel:DWORD dst_unused:UNUSED_PAD src0_sel:WORD_1 src1_sel:DWORD
	v_fma_f16 v93, v95, s0, v93
	v_add_f16_e32 v96, v96, v97
	s_movk_i32 s2, 0x34f2
	v_fma_f16 v91, v95, s4, v91
	v_fma_f16 v81, v15, v104, v81
	v_fma_f16 v15, v15, v109, -v90
	v_add_f16_e32 v90, v40, v110
	v_fma_f16 v93, v96, s2, v93
	v_fma_f16 v91, v96, s2, v91
	v_add_f16_e32 v96, v110, v83
	v_lshrrev_b32_e32 v62, 16, v40
	v_add_f16_e32 v90, v90, v78
	v_fma_f16 v40, v96, -0.5, v40
	v_add_f16_e32 v90, v90, v82
	v_fma_f16 v96, v95, s3, v40
	v_sub_f16_e32 v97, v78, v110
	v_sub_f16_e32 v98, v82, v83
	v_fma_f16 v40, v95, s1, v40
	v_add_f16_e32 v95, v44, v47
	v_add_f16_e32 v90, v90, v83
	v_fma_f16 v96, v92, s0, v96
	v_add_f16_e32 v97, v97, v98
	v_fma_f16 v40, v92, s4, v40
	v_fma_f16 v95, v95, -0.5, v62
	v_sub_f16_e32 v83, v110, v83
	v_fma_f16 v96, v97, s2, v96
	v_fma_f16 v40, v97, s2, v40
	;; [unrolled: 1-line block ×3, first 2 shown]
	v_sub_f16_e32 v78, v78, v82
	v_fma_f16 v82, v78, s4, v97
	v_sub_f16_e32 v97, v43, v44
	v_sub_f16_e32 v98, v48, v47
	v_fma_f16 v95, v83, s1, v95
	v_add_f16_e32 v92, v62, v43
	v_add_f16_e32 v97, v97, v98
	v_fma_f16 v95, v78, s0, v95
	v_add_f16_e32 v92, v92, v44
	v_fma_f16 v82, v97, s2, v82
	v_fma_f16 v95, v97, s2, v95
	v_add_f16_e32 v97, v43, v48
	v_add_f16_e32 v92, v92, v47
	v_fma_f16 v62, v97, -0.5, v62
	v_add_f16_e32 v92, v92, v48
	v_fma_f16 v97, v78, s1, v62
	v_sub_f16_e32 v43, v44, v43
	v_sub_f16_e32 v44, v47, v48
	v_add_f16_e32 v48, v50, v45
	v_fma_f16 v97, v83, s4, v97
	v_add_f16_e32 v43, v43, v44
	v_fma_f16 v47, v78, s3, v62
	v_fma_f16 v48, v48, -0.5, v41
	v_sub_f16_e32 v62, v0, v3
	v_fma_f16 v44, v43, s2, v97
	v_fma_f16 v47, v83, s0, v47
	;; [unrolled: 1-line block ×3, first 2 shown]
	v_sub_f16_e32 v83, v1, v2
	v_sub_f16_e32 v97, v88, v50
	;; [unrolled: 1-line block ×3, first 2 shown]
	v_fma_f16 v48, v62, s3, v48
	v_fma_f16 v78, v83, s0, v78
	v_add_f16_e32 v97, v97, v98
	v_fma_f16 v48, v83, s4, v48
	v_fma_f16 v43, v43, s2, v47
	v_add_f16_e32 v47, v41, v88
	;; [unrolled: 3-line block ×3, first 2 shown]
	v_lshrrev_b32_e32 v89, 16, v41
	v_add_f16_e32 v47, v47, v50
	v_fma_f16 v41, v97, -0.5, v41
	v_add_f16_e32 v47, v47, v45
	v_fma_f16 v97, v83, s3, v41
	v_fma_f16 v41, v83, s1, v41
	v_add_f16_e32 v83, v1, v2
	v_add_f16_e32 v47, v47, v52
	v_sub_f16_e32 v98, v50, v88
	v_sub_f16_e32 v100, v45, v52
	v_fma_f16 v83, v83, -0.5, v89
	v_sub_f16_e32 v52, v88, v52
	v_fma_f16 v97, v62, s0, v97
	v_add_f16_e32 v98, v98, v100
	v_fma_f16 v41, v62, s4, v41
	v_fma_f16 v88, v52, s3, v83
	v_sub_f16_e32 v45, v50, v45
	ds_read2_b32 v[54:55], v64 offset0:26 offset1:39
	v_fma_f16 v97, v98, s2, v97
	v_fma_f16 v41, v98, s2, v41
	;; [unrolled: 1-line block ×3, first 2 shown]
	v_sub_f16_e32 v88, v0, v1
	v_sub_f16_e32 v98, v3, v2
	v_fma_f16 v83, v52, s1, v83
	v_add_f16_e32 v62, v89, v0
	v_add_f16_e32 v88, v88, v98
	v_fma_f16 v83, v45, s0, v83
	v_add_f16_e32 v62, v62, v1
	v_fma_f16 v50, v88, s2, v50
	v_fma_f16 v83, v88, s2, v83
	v_add_f16_e32 v88, v0, v3
	v_add_f16_e32 v62, v62, v2
	v_fma_f16 v88, v88, -0.5, v89
	v_add_f16_e32 v62, v62, v3
	v_fma_f16 v89, v45, s1, v88
	v_sub_f16_e32 v0, v1, v0
	v_sub_f16_e32 v1, v2, v3
	v_add_f16_e32 v3, v51, v56
	v_fma_f16 v89, v52, s4, v89
	v_add_f16_e32 v0, v0, v1
	v_fma_f16 v2, v45, s3, v88
	s_waitcnt lgkmcnt(0)
	v_fma_f16 v3, v3, -0.5, v54
	v_sub_f16_e32 v45, v4, v7
	v_fma_f16 v1, v0, s2, v89
	v_fma_f16 v2, v52, s0, v2
	;; [unrolled: 1-line block ×3, first 2 shown]
	v_sub_f16_e32 v88, v5, v6
	v_sub_f16_e32 v89, v49, v51
	;; [unrolled: 1-line block ×3, first 2 shown]
	v_fma_f16 v3, v45, s3, v3
	v_fma_f16 v52, v88, s0, v52
	v_add_f16_e32 v89, v89, v98
	v_fma_f16 v3, v88, s4, v3
	v_fma_f16 v52, v89, s2, v52
	;; [unrolled: 1-line block ×3, first 2 shown]
	v_add_f16_e32 v89, v49, v53
	v_lshrrev_b32_e32 v94, 16, v54
	v_fma_f16 v0, v0, s2, v2
	v_add_f16_e32 v2, v54, v49
	v_fma_f16 v54, v89, -0.5, v54
	v_add_f16_e32 v2, v2, v51
	v_fma_f16 v89, v88, s3, v54
	v_sub_f16_e32 v98, v51, v49
	v_sub_f16_e32 v100, v56, v53
	v_fma_f16 v54, v88, s1, v54
	v_add_f16_e32 v88, v5, v6
	v_add_f16_e32 v2, v2, v56
	v_fma_f16 v89, v45, s0, v89
	v_add_f16_e32 v98, v98, v100
	v_fma_f16 v45, v45, s4, v54
	v_fma_f16 v88, v88, -0.5, v94
	v_sub_f16_e32 v49, v49, v53
	v_add_f16_e32 v2, v2, v53
	v_fma_f16 v89, v98, s2, v89
	v_fma_f16 v45, v98, s2, v45
	v_fma_f16 v53, v49, s3, v88
	v_sub_f16_e32 v51, v51, v56
	v_sub_f16_e32 v56, v4, v5
	v_sub_f16_e32 v98, v7, v6
	v_fma_f16 v88, v49, s1, v88
	v_add_f16_e32 v54, v94, v4
	v_fma_f16 v53, v51, s4, v53
	v_add_f16_e32 v56, v56, v98
	;; [unrolled: 2-line block ×3, first 2 shown]
	v_fma_f16 v53, v56, s2, v53
	v_fma_f16 v56, v56, s2, v88
	v_add_f16_e32 v88, v4, v7
	v_add_f16_e32 v54, v54, v6
	v_fma_f16 v88, v88, -0.5, v94
	v_add_f16_e32 v54, v54, v7
	v_fma_f16 v94, v51, s1, v88
	v_sub_f16_e32 v4, v5, v4
	v_sub_f16_e32 v5, v6, v7
	v_fma_f16 v6, v51, s3, v88
	v_add_f16_e32 v7, v60, v57
	v_fma_f16 v94, v49, s4, v94
	v_add_f16_e32 v4, v4, v5
	v_fma_f16 v6, v49, s0, v6
	v_fma_f16 v7, v7, -0.5, v55
	v_sub_f16_e32 v49, v8, v11
	v_fma_f16 v5, v4, s2, v94
	v_fma_f16 v51, v49, s1, v7
	v_sub_f16_e32 v88, v9, v10
	v_sub_f16_e32 v94, v58, v60
	;; [unrolled: 1-line block ×3, first 2 shown]
	v_fma_f16 v7, v49, s3, v7
	v_fma_f16 v51, v88, s0, v51
	v_add_f16_e32 v94, v94, v98
	v_fma_f16 v7, v88, s4, v7
	v_fma_f16 v51, v94, s2, v51
	;; [unrolled: 1-line block ×3, first 2 shown]
	v_add_f16_e32 v94, v58, v80
	v_lshrrev_b32_e32 v99, 16, v55
	v_fma_f16 v4, v4, s2, v6
	v_add_f16_e32 v6, v55, v58
	v_fma_f16 v55, v94, -0.5, v55
	v_add_f16_e32 v6, v6, v60
	v_fma_f16 v94, v88, s3, v55
	v_fma_f16 v55, v88, s1, v55
	v_add_f16_e32 v88, v9, v10
	v_add_f16_e32 v6, v6, v57
	v_sub_f16_e32 v98, v60, v58
	v_sub_f16_e32 v100, v57, v80
	v_fma_f16 v88, v88, -0.5, v99
	v_sub_f16_e32 v58, v58, v80
	v_add_f16_e32 v6, v6, v80
	v_fma_f16 v94, v49, s0, v94
	v_add_f16_e32 v98, v98, v100
	v_fma_f16 v49, v49, s4, v55
	v_fma_f16 v80, v58, s3, v88
	v_sub_f16_e32 v57, v60, v57
	v_fma_f16 v94, v98, s2, v94
	v_fma_f16 v49, v98, s2, v49
	v_fma_f16 v60, v57, s4, v80
	v_sub_f16_e32 v80, v8, v9
	v_sub_f16_e32 v98, v11, v10
	v_fma_f16 v88, v58, s1, v88
	v_add_f16_e32 v55, v99, v8
	v_add_f16_e32 v80, v80, v98
	v_fma_f16 v88, v57, s0, v88
	v_add_f16_e32 v55, v55, v9
	v_fma_f16 v60, v80, s2, v60
	v_fma_f16 v80, v80, s2, v88
	v_add_f16_e32 v88, v8, v11
	v_add_f16_e32 v55, v55, v10
	v_fma_f16 v88, v88, -0.5, v99
	v_add_f16_e32 v55, v55, v11
	v_fma_f16 v98, v57, s1, v88
	v_sub_f16_e32 v8, v9, v8
	v_sub_f16_e32 v9, v10, v11
	v_add_f16_e32 v11, v61, v46
	v_fma_f16 v98, v58, s4, v98
	v_add_f16_e32 v8, v8, v9
	v_fma_f16 v10, v57, s3, v88
	v_fma_f16 v11, v11, -0.5, v42
	v_sub_f16_e32 v57, v12, v15
	v_fma_f16 v9, v8, s2, v98
	v_fma_f16 v10, v58, s0, v10
	;; [unrolled: 1-line block ×3, first 2 shown]
	v_sub_f16_e32 v88, v13, v14
	v_sub_f16_e32 v98, v59, v61
	;; [unrolled: 1-line block ×3, first 2 shown]
	v_fma_f16 v11, v57, s3, v11
	v_fma_f16 v58, v88, s0, v58
	v_add_f16_e32 v98, v98, v99
	v_fma_f16 v11, v88, s4, v11
	v_fma_f16 v58, v98, s2, v58
	;; [unrolled: 1-line block ×3, first 2 shown]
	v_add_f16_e32 v98, v59, v81
	v_lshrrev_b32_e32 v105, 16, v42
	v_fma_f16 v8, v8, s2, v10
	v_add_f16_e32 v10, v42, v59
	v_fma_f16 v42, v98, -0.5, v42
	v_add_f16_e32 v10, v10, v61
	v_fma_f16 v98, v88, s3, v42
	v_fma_f16 v42, v88, s1, v42
	v_add_f16_e32 v88, v13, v14
	v_add_f16_e32 v10, v10, v46
	v_sub_f16_e32 v99, v61, v59
	v_sub_f16_e32 v100, v46, v81
	v_fma_f16 v88, v88, -0.5, v105
	v_sub_f16_e32 v59, v59, v81
	v_add_f16_e32 v10, v10, v81
	v_fma_f16 v98, v57, s0, v98
	v_add_f16_e32 v99, v99, v100
	v_fma_f16 v42, v57, s4, v42
	v_fma_f16 v81, v59, s3, v88
	v_sub_f16_e32 v46, v61, v46
	v_fma_f16 v98, v99, s2, v98
	v_fma_f16 v42, v99, s2, v42
	;; [unrolled: 1-line block ×3, first 2 shown]
	v_sub_f16_e32 v81, v12, v13
	v_sub_f16_e32 v99, v15, v14
	v_fma_f16 v88, v59, s1, v88
	v_add_f16_e32 v81, v81, v99
	v_fma_f16 v88, v46, s0, v88
	v_add_f16_e32 v57, v105, v12
	v_fma_f16 v61, v81, s2, v61
	v_fma_f16 v81, v81, s2, v88
	v_add_f16_e32 v88, v12, v15
	v_add_f16_e32 v57, v57, v13
	v_fma_f16 v88, v88, -0.5, v105
	v_add_f16_e32 v57, v57, v14
	v_fma_f16 v99, v46, s1, v88
	v_sub_f16_e32 v12, v13, v12
	v_sub_f16_e32 v13, v14, v15
	v_fma_f16 v14, v46, s3, v88
	v_fma_f16 v99, v59, s4, v99
	v_add_f16_e32 v12, v12, v13
	v_fma_f16 v14, v59, s0, v14
	v_add_f16_e32 v57, v57, v15
	v_fma_f16 v13, v12, s2, v99
	v_fma_f16 v12, v12, s2, v14
	v_pack_b32_f16 v14, v90, v92
	v_pack_b32_f16 v15, v93, v82
	s_waitcnt lgkmcnt(0)
	; wave barrier
	ds_write2_b32 v64, v14, v15 offset1:13
	v_pack_b32_f16 v14, v96, v44
	v_pack_b32_f16 v15, v40, v43
	ds_write2_b32 v64, v14, v15 offset0:26 offset1:39
	v_pack_b32_f16 v14, v91, v95
	v_pack_b32_f16 v15, v47, v62
	ds_write2_b32 v64, v14, v15 offset0:52 offset1:65
	;; [unrolled: 3-line block ×6, first 2 shown]
	v_pack_b32_f16 v0, v3, v56
	ds_write_b32 v84, v0 offset:728
	v_pack_b32_f16 v0, v6, v55
	v_pack_b32_f16 v1, v51, v60
	ds_write2_b32 v85, v0, v1 offset0:195 offset1:208
	v_pack_b32_f16 v0, v94, v9
	v_pack_b32_f16 v1, v49, v8
	ds_write2_b32 v85, v0, v1 offset0:221 offset1:234
	v_pack_b32_f16 v0, v7, v80
	ds_write_b32 v85, v0 offset:988
	v_pack_b32_f16 v0, v10, v57
	v_pack_b32_f16 v1, v58, v61
	v_add_u32_e32 v2, 0x400, v86
	ds_write2_b32 v2, v0, v1 offset0:4 offset1:17
	v_pack_b32_f16 v0, v98, v13
	v_pack_b32_f16 v1, v42, v12
	ds_write2_b32 v2, v0, v1 offset0:30 offset1:43
	v_pack_b32_f16 v0, v11, v81
	ds_write_b32 v86, v0 offset:1248
	s_waitcnt lgkmcnt(0)
	; wave barrier
	s_waitcnt lgkmcnt(0)
	ds_read2_b32 v[0:1], v64 offset1:13
	ds_read2_b32 v[2:3], v64 offset0:52 offset1:65
	ds_read2_b32 v[4:5], v64 offset0:130 offset1:143
	;; [unrolled: 1-line block ×6, first 2 shown]
	s_waitcnt lgkmcnt(5)
	v_lshrrev_b32_e32 v49, 16, v3
	v_mul_f16_sdwa v91, v16, v49 dst_sel:DWORD dst_unused:UNUSED_PAD src0_sel:WORD_1 src1_sel:DWORD
	s_waitcnt lgkmcnt(4)
	v_lshrrev_b32_e32 v50, 16, v4
	v_fma_f16 v91, v16, v3, v91
	v_mul_f16_sdwa v3, v16, v3 dst_sel:DWORD dst_unused:UNUSED_PAD src0_sel:WORD_1 src1_sel:DWORD
	v_fma_f16 v3, v16, v49, -v3
	v_mul_f16_sdwa v16, v17, v50 dst_sel:DWORD dst_unused:UNUSED_PAD src0_sel:WORD_1 src1_sel:DWORD
	s_waitcnt lgkmcnt(3)
	v_lshrrev_b32_e32 v51, 16, v7
	v_fma_f16 v16, v17, v4, v16
	v_mul_f16_sdwa v4, v17, v4 dst_sel:DWORD dst_unused:UNUSED_PAD src0_sel:WORD_1 src1_sel:DWORD
	v_fma_f16 v4, v17, v50, -v4
	;; [unrolled: 6-line block ×4, first 2 shown]
	v_mul_f16_sdwa v19, v20, v54 dst_sel:DWORD dst_unused:UNUSED_PAD src0_sel:WORD_1 src1_sel:DWORD
	v_lshrrev_b32_e32 v55, 16, v5
	v_fma_f16 v19, v20, v10, v19
	v_mul_f16_sdwa v10, v20, v10 dst_sel:DWORD dst_unused:UNUSED_PAD src0_sel:WORD_1 src1_sel:DWORD
	v_fma_f16 v10, v20, v54, -v10
	v_mul_f16_sdwa v20, v21, v55 dst_sel:DWORD dst_unused:UNUSED_PAD src0_sel:WORD_1 src1_sel:DWORD
	s_waitcnt lgkmcnt(0)
	v_lshrrev_b32_e32 v56, 16, v12
	v_fma_f16 v20, v21, v5, v20
	v_mul_f16_sdwa v5, v21, v5 dst_sel:DWORD dst_unused:UNUSED_PAD src0_sel:WORD_1 src1_sel:DWORD
	ds_read2_b32 v[40:41], v64 offset0:156 offset1:169
	v_fma_f16 v5, v21, v55, -v5
	v_mul_f16_sdwa v21, v22, v56 dst_sel:DWORD dst_unused:UNUSED_PAD src0_sel:WORD_1 src1_sel:DWORD
	v_lshrrev_b32_e32 v57, 16, v9
	v_fma_f16 v21, v22, v12, v21
	v_mul_f16_sdwa v12, v22, v12 dst_sel:DWORD dst_unused:UNUSED_PAD src0_sel:WORD_1 src1_sel:DWORD
	v_fma_f16 v12, v22, v56, -v12
	v_mul_f16_sdwa v22, v23, v57 dst_sel:DWORD dst_unused:UNUSED_PAD src0_sel:WORD_1 src1_sel:DWORD
	v_lshrrev_b32_e32 v59, 16, v11
	v_fma_f16 v22, v23, v9, v22
	v_mul_f16_sdwa v9, v23, v9 dst_sel:DWORD dst_unused:UNUSED_PAD src0_sel:WORD_1 src1_sel:DWORD
	ds_read2_b32 v[42:43], v39 offset0:30 offset1:43
	v_fma_f16 v9, v23, v57, -v9
	v_mul_f16_sdwa v23, v24, v59 dst_sel:DWORD dst_unused:UNUSED_PAD src0_sel:WORD_1 src1_sel:DWORD
	s_waitcnt lgkmcnt(1)
	v_lshrrev_b32_e32 v60, 16, v40
	v_fma_f16 v23, v24, v11, v23
	v_mul_f16_sdwa v11, v24, v11 dst_sel:DWORD dst_unused:UNUSED_PAD src0_sel:WORD_1 src1_sel:DWORD
	ds_read2_b32 v[44:45], v64 offset0:104 offset1:117
	v_fma_f16 v11, v24, v59, -v11
	v_mul_f16_sdwa v24, v25, v60 dst_sel:DWORD dst_unused:UNUSED_PAD src0_sel:WORD_1 src1_sel:DWORD
	v_lshrrev_b32_e32 v61, 16, v13
	v_fma_f16 v24, v25, v40, v24
	v_mul_f16_sdwa v40, v25, v40 dst_sel:DWORD dst_unused:UNUSED_PAD src0_sel:WORD_1 src1_sel:DWORD
	v_fma_f16 v25, v25, v60, -v40
	v_mul_f16_sdwa v40, v26, v61 dst_sel:DWORD dst_unused:UNUSED_PAD src0_sel:WORD_1 src1_sel:DWORD
	s_waitcnt lgkmcnt(1)
	v_lshrrev_b32_e32 v62, 16, v42
	v_fma_f16 v40, v26, v13, v40
	v_mul_f16_sdwa v13, v26, v13 dst_sel:DWORD dst_unused:UNUSED_PAD src0_sel:WORD_1 src1_sel:DWORD
	ds_read2_b32 v[46:47], v64 offset0:234 offset1:247
	v_fma_f16 v13, v26, v61, -v13
	v_mul_f16_sdwa v26, v27, v62 dst_sel:DWORD dst_unused:UNUSED_PAD src0_sel:WORD_1 src1_sel:DWORD
	s_waitcnt lgkmcnt(1)
	v_lshrrev_b32_e32 v80, 16, v44
	v_fma_f16 v26, v27, v42, v26
	v_mul_f16_sdwa v42, v27, v42 dst_sel:DWORD dst_unused:UNUSED_PAD src0_sel:WORD_1 src1_sel:DWORD
	v_fma_f16 v27, v27, v62, -v42
	v_mul_f16_sdwa v42, v28, v80 dst_sel:DWORD dst_unused:UNUSED_PAD src0_sel:WORD_1 src1_sel:DWORD
	v_lshrrev_b32_e32 v81, 16, v41
	v_fma_f16 v42, v28, v44, v42
	v_mul_f16_sdwa v44, v28, v44 dst_sel:DWORD dst_unused:UNUSED_PAD src0_sel:WORD_1 src1_sel:DWORD
	v_fma_f16 v28, v28, v80, -v44
	v_mul_f16_sdwa v44, v29, v81 dst_sel:DWORD dst_unused:UNUSED_PAD src0_sel:WORD_1 src1_sel:DWORD
	s_waitcnt lgkmcnt(0)
	v_lshrrev_b32_e32 v82, 16, v46
	v_fma_f16 v44, v29, v41, v44
	v_mul_f16_sdwa v41, v29, v41 dst_sel:DWORD dst_unused:UNUSED_PAD src0_sel:WORD_1 src1_sel:DWORD
	v_fma_f16 v29, v29, v81, -v41
	v_mul_f16_sdwa v41, v30, v82 dst_sel:DWORD dst_unused:UNUSED_PAD src0_sel:WORD_1 src1_sel:DWORD
	v_lshrrev_b32_e32 v83, 16, v43
	v_fma_f16 v41, v30, v46, v41
	v_mul_f16_sdwa v46, v30, v46 dst_sel:DWORD dst_unused:UNUSED_PAD src0_sel:WORD_1 src1_sel:DWORD
	v_fma_f16 v30, v30, v82, -v46
	v_mul_f16_sdwa v46, v31, v83 dst_sel:DWORD dst_unused:UNUSED_PAD src0_sel:WORD_1 src1_sel:DWORD
	v_lshrrev_b32_e32 v86, 16, v45
	v_fma_f16 v46, v31, v43, v46
	v_mul_f16_sdwa v43, v31, v43 dst_sel:DWORD dst_unused:UNUSED_PAD src0_sel:WORD_1 src1_sel:DWORD
	ds_read_b32 v84, v64 offset:1248
	v_fma_f16 v31, v31, v83, -v43
	v_mul_f16_sdwa v43, v32, v86 dst_sel:DWORD dst_unused:UNUSED_PAD src0_sel:WORD_1 src1_sel:DWORD
	v_lshrrev_b32_e32 v88, 16, v6
	v_fma_f16 v43, v32, v45, v43
	v_mul_f16_sdwa v45, v32, v45 dst_sel:DWORD dst_unused:UNUSED_PAD src0_sel:WORD_1 src1_sel:DWORD
	v_fma_f16 v32, v32, v86, -v45
	v_mul_f16_sdwa v45, v33, v88 dst_sel:DWORD dst_unused:UNUSED_PAD src0_sel:WORD_1 src1_sel:DWORD
	v_lshrrev_b32_e32 v89, 16, v47
	v_fma_f16 v45, v33, v6, v45
	v_mul_f16_sdwa v6, v33, v6 dst_sel:DWORD dst_unused:UNUSED_PAD src0_sel:WORD_1 src1_sel:DWORD
	v_add_f16_e32 v50, v16, v17
	v_fma_f16 v6, v33, v88, -v6
	v_mul_f16_sdwa v33, v34, v89 dst_sel:DWORD dst_unused:UNUSED_PAD src0_sel:WORD_1 src1_sel:DWORD
	v_fma_f16 v50, v50, -0.5, v0
	v_sub_f16_e32 v51, v3, v8
	s_waitcnt lgkmcnt(0)
	v_lshrrev_b32_e32 v90, 16, v84
	v_fma_f16 v33, v34, v47, v33
	v_mul_f16_sdwa v47, v34, v47 dst_sel:DWORD dst_unused:UNUSED_PAD src0_sel:WORD_1 src1_sel:DWORD
	v_fma_f16 v52, v51, s1, v50
	v_sub_f16_e32 v54, v4, v7
	v_sub_f16_e32 v55, v91, v16
	;; [unrolled: 1-line block ×3, first 2 shown]
	v_fma_f16 v50, v51, s3, v50
	v_fma_f16 v34, v34, v89, -v47
	v_mul_f16_sdwa v47, v35, v90 dst_sel:DWORD dst_unused:UNUSED_PAD src0_sel:WORD_1 src1_sel:DWORD
	v_mul_f16_sdwa v49, v35, v84 dst_sel:DWORD dst_unused:UNUSED_PAD src0_sel:WORD_1 src1_sel:DWORD
	v_fma_f16 v52, v54, s0, v52
	v_add_f16_e32 v55, v55, v56
	v_fma_f16 v50, v54, s4, v50
	v_fma_f16 v47, v35, v84, v47
	v_fma_f16 v35, v35, v90, -v49
	v_add_f16_e32 v49, v0, v91
	v_fma_f16 v52, v55, s2, v52
	v_fma_f16 v50, v55, s2, v50
	v_add_f16_e32 v55, v91, v18
	v_lshrrev_b32_e32 v48, 16, v0
	v_add_f16_e32 v49, v49, v16
	v_fma_f16 v0, v55, -0.5, v0
	v_add_f16_e32 v49, v49, v17
	v_fma_f16 v55, v54, s3, v0
	v_sub_f16_e32 v56, v16, v91
	v_sub_f16_e32 v57, v17, v18
	v_fma_f16 v0, v54, s1, v0
	v_add_f16_e32 v54, v4, v7
	v_add_f16_e32 v49, v49, v18
	v_fma_f16 v55, v51, s0, v55
	v_add_f16_e32 v56, v56, v57
	v_fma_f16 v0, v51, s4, v0
	v_fma_f16 v54, v54, -0.5, v48
	v_sub_f16_e32 v18, v91, v18
	v_fma_f16 v55, v56, s2, v55
	v_fma_f16 v0, v56, s2, v0
	;; [unrolled: 1-line block ×3, first 2 shown]
	v_sub_f16_e32 v16, v16, v17
	v_fma_f16 v17, v16, s4, v56
	v_sub_f16_e32 v56, v3, v4
	v_sub_f16_e32 v57, v8, v7
	v_fma_f16 v54, v18, s1, v54
	v_add_f16_e32 v51, v48, v3
	v_add_f16_e32 v56, v56, v57
	v_fma_f16 v54, v16, s0, v54
	v_add_f16_e32 v51, v51, v4
	v_fma_f16 v17, v56, s2, v17
	v_fma_f16 v54, v56, s2, v54
	v_add_f16_e32 v56, v3, v8
	v_add_f16_e32 v51, v51, v7
	v_fma_f16 v48, v56, -0.5, v48
	v_add_f16_e32 v51, v51, v8
	v_fma_f16 v56, v16, s1, v48
	v_sub_f16_e32 v3, v4, v3
	v_sub_f16_e32 v4, v7, v8
	v_add_f16_e32 v8, v20, v21
	v_fma_f16 v56, v18, s4, v56
	v_add_f16_e32 v3, v3, v4
	v_fma_f16 v7, v16, s3, v48
	v_fma_f16 v8, v8, -0.5, v1
	v_sub_f16_e32 v16, v10, v9
	v_fma_f16 v4, v3, s2, v56
	v_fma_f16 v7, v18, s0, v7
	v_fma_f16 v18, v16, s1, v8
	v_sub_f16_e32 v48, v5, v12
	v_sub_f16_e32 v56, v19, v20
	;; [unrolled: 1-line block ×3, first 2 shown]
	v_fma_f16 v8, v16, s3, v8
	v_fma_f16 v18, v48, s0, v18
	v_add_f16_e32 v56, v56, v57
	v_fma_f16 v8, v48, s4, v8
	v_fma_f16 v18, v56, s2, v18
	;; [unrolled: 1-line block ×3, first 2 shown]
	v_add_f16_e32 v56, v19, v22
	v_lshrrev_b32_e32 v53, 16, v1
	v_fma_f16 v3, v3, s2, v7
	v_add_f16_e32 v7, v1, v19
	v_fma_f16 v1, v56, -0.5, v1
	v_add_f16_e32 v7, v7, v20
	v_fma_f16 v56, v48, s3, v1
	v_fma_f16 v1, v48, s1, v1
	v_add_f16_e32 v48, v5, v12
	v_add_f16_e32 v7, v7, v21
	v_sub_f16_e32 v57, v20, v19
	v_sub_f16_e32 v59, v21, v22
	v_fma_f16 v48, v48, -0.5, v53
	v_sub_f16_e32 v19, v19, v22
	v_add_f16_e32 v7, v7, v22
	v_fma_f16 v56, v16, s0, v56
	v_add_f16_e32 v57, v57, v59
	v_fma_f16 v1, v16, s4, v1
	v_fma_f16 v22, v19, s3, v48
	v_sub_f16_e32 v20, v20, v21
	ds_read2_b32 v[14:15], v64 offset0:26 offset1:39
	v_fma_f16 v56, v57, s2, v56
	v_fma_f16 v1, v57, s2, v1
	v_fma_f16 v21, v20, s4, v22
	v_sub_f16_e32 v22, v10, v5
	v_sub_f16_e32 v57, v9, v12
	v_fma_f16 v48, v19, s1, v48
	v_add_f16_e32 v16, v53, v10
	v_add_f16_e32 v22, v22, v57
	v_fma_f16 v48, v20, s0, v48
	v_add_f16_e32 v16, v16, v5
	v_fma_f16 v21, v22, s2, v21
	v_fma_f16 v22, v22, s2, v48
	v_add_f16_e32 v48, v10, v9
	v_add_f16_e32 v16, v16, v12
	v_fma_f16 v48, v48, -0.5, v53
	v_add_f16_e32 v16, v16, v9
	v_fma_f16 v53, v20, s1, v48
	v_sub_f16_e32 v5, v5, v10
	v_sub_f16_e32 v9, v12, v9
	v_fma_f16 v10, v20, s3, v48
	v_add_f16_e32 v12, v24, v40
	v_fma_f16 v53, v19, s4, v53
	v_add_f16_e32 v5, v5, v9
	v_fma_f16 v10, v19, s0, v10
	s_waitcnt lgkmcnt(0)
	v_fma_f16 v12, v12, -0.5, v14
	v_sub_f16_e32 v19, v11, v27
	v_fma_f16 v9, v5, s2, v53
	v_fma_f16 v20, v19, s1, v12
	v_sub_f16_e32 v48, v25, v13
	v_sub_f16_e32 v53, v23, v24
	;; [unrolled: 1-line block ×3, first 2 shown]
	v_fma_f16 v12, v19, s3, v12
	v_fma_f16 v20, v48, s0, v20
	v_add_f16_e32 v53, v53, v57
	v_fma_f16 v12, v48, s4, v12
	v_fma_f16 v20, v53, s2, v20
	;; [unrolled: 1-line block ×3, first 2 shown]
	v_add_f16_e32 v53, v23, v26
	v_lshrrev_b32_e32 v58, 16, v14
	v_fma_f16 v5, v5, s2, v10
	v_add_f16_e32 v10, v14, v23
	v_fma_f16 v14, v53, -0.5, v14
	v_add_f16_e32 v10, v10, v24
	v_fma_f16 v53, v48, s3, v14
	v_sub_f16_e32 v57, v24, v23
	v_sub_f16_e32 v59, v40, v26
	v_fma_f16 v14, v48, s1, v14
	v_add_f16_e32 v48, v25, v13
	v_add_f16_e32 v10, v10, v40
	v_fma_f16 v53, v19, s0, v53
	v_add_f16_e32 v57, v57, v59
	v_fma_f16 v14, v19, s4, v14
	v_fma_f16 v48, v48, -0.5, v58
	v_sub_f16_e32 v23, v23, v26
	v_add_f16_e32 v10, v10, v26
	v_fma_f16 v53, v57, s2, v53
	v_fma_f16 v14, v57, s2, v14
	;; [unrolled: 1-line block ×3, first 2 shown]
	v_sub_f16_e32 v24, v24, v40
	v_sub_f16_e32 v40, v11, v25
	;; [unrolled: 1-line block ×3, first 2 shown]
	v_fma_f16 v48, v23, s1, v48
	v_fma_f16 v26, v24, s4, v26
	v_add_f16_e32 v40, v40, v57
	v_fma_f16 v48, v24, s0, v48
	v_fma_f16 v26, v40, s2, v26
	;; [unrolled: 1-line block ×3, first 2 shown]
	v_add_f16_e32 v48, v11, v27
	v_add_f16_e32 v19, v58, v11
	v_fma_f16 v48, v48, -0.5, v58
	v_add_f16_e32 v19, v19, v25
	v_fma_f16 v57, v24, s1, v48
	v_fma_f16 v24, v24, s3, v48
	v_add_f16_e32 v19, v19, v13
	v_fma_f16 v57, v23, s4, v57
	v_sub_f16_e32 v11, v25, v11
	v_sub_f16_e32 v13, v13, v27
	v_fma_f16 v23, v23, s0, v24
	v_add_f16_e32 v24, v44, v41
	v_add_f16_e32 v11, v11, v13
	v_fma_f16 v24, v24, -0.5, v15
	v_sub_f16_e32 v25, v28, v31
	v_add_f16_e32 v19, v19, v27
	v_fma_f16 v13, v11, s2, v57
	v_fma_f16 v27, v25, s1, v24
	v_sub_f16_e32 v48, v29, v30
	v_sub_f16_e32 v57, v42, v44
	;; [unrolled: 1-line block ×3, first 2 shown]
	v_fma_f16 v24, v25, s3, v24
	v_fma_f16 v27, v48, s0, v27
	v_add_f16_e32 v57, v57, v58
	v_fma_f16 v24, v48, s4, v24
	v_fma_f16 v27, v57, s2, v27
	;; [unrolled: 1-line block ×3, first 2 shown]
	v_add_f16_e32 v57, v42, v46
	v_lshrrev_b32_e32 v78, 16, v15
	v_fma_f16 v11, v11, s2, v23
	v_add_f16_e32 v23, v15, v42
	v_fma_f16 v15, v57, -0.5, v15
	v_add_f16_e32 v23, v23, v44
	v_fma_f16 v57, v48, s3, v15
	v_fma_f16 v15, v48, s1, v15
	v_add_f16_e32 v48, v29, v30
	v_add_f16_e32 v23, v23, v41
	v_sub_f16_e32 v58, v44, v42
	v_sub_f16_e32 v59, v41, v46
	v_fma_f16 v48, v48, -0.5, v78
	v_sub_f16_e32 v42, v42, v46
	v_add_f16_e32 v23, v23, v46
	v_fma_f16 v57, v25, s0, v57
	v_add_f16_e32 v58, v58, v59
	v_fma_f16 v15, v25, s4, v15
	v_fma_f16 v46, v42, s3, v48
	v_sub_f16_e32 v41, v44, v41
	v_fma_f16 v57, v58, s2, v57
	v_fma_f16 v15, v58, s2, v15
	;; [unrolled: 1-line block ×3, first 2 shown]
	v_sub_f16_e32 v46, v28, v29
	v_sub_f16_e32 v58, v31, v30
	v_fma_f16 v48, v42, s1, v48
	v_add_f16_e32 v25, v78, v28
	v_add_f16_e32 v46, v46, v58
	v_fma_f16 v48, v41, s0, v48
	v_add_f16_e32 v25, v25, v29
	v_fma_f16 v44, v46, s2, v44
	v_fma_f16 v46, v46, s2, v48
	v_add_f16_e32 v48, v28, v31
	v_add_f16_e32 v25, v25, v30
	v_fma_f16 v48, v48, -0.5, v78
	v_add_f16_e32 v25, v25, v31
	v_fma_f16 v58, v41, s1, v48
	v_sub_f16_e32 v28, v29, v28
	v_sub_f16_e32 v29, v30, v31
	v_add_f16_e32 v31, v45, v33
	v_fma_f16 v58, v42, s4, v58
	v_add_f16_e32 v28, v28, v29
	v_fma_f16 v30, v41, s3, v48
	v_fma_f16 v31, v31, -0.5, v2
	v_sub_f16_e32 v41, v32, v35
	v_fma_f16 v29, v28, s2, v58
	v_fma_f16 v30, v42, s0, v30
	v_fma_f16 v42, v41, s1, v31
	v_sub_f16_e32 v48, v6, v34
	v_sub_f16_e32 v58, v43, v45
	;; [unrolled: 1-line block ×3, first 2 shown]
	v_fma_f16 v31, v41, s3, v31
	v_fma_f16 v42, v48, s0, v42
	v_add_f16_e32 v58, v58, v59
	v_fma_f16 v31, v48, s4, v31
	v_fma_f16 v42, v58, s2, v42
	;; [unrolled: 1-line block ×3, first 2 shown]
	v_add_f16_e32 v58, v43, v47
	v_lshrrev_b32_e32 v85, 16, v2
	v_fma_f16 v28, v28, s2, v30
	v_add_f16_e32 v30, v2, v43
	v_fma_f16 v2, v58, -0.5, v2
	v_add_f16_e32 v30, v30, v45
	v_fma_f16 v58, v48, s3, v2
	v_fma_f16 v2, v48, s1, v2
	v_add_f16_e32 v48, v6, v34
	v_add_f16_e32 v30, v30, v33
	v_sub_f16_e32 v59, v45, v43
	v_sub_f16_e32 v60, v33, v47
	v_fma_f16 v48, v48, -0.5, v85
	v_sub_f16_e32 v43, v43, v47
	v_add_f16_e32 v30, v30, v47
	v_fma_f16 v58, v41, s0, v58
	v_add_f16_e32 v59, v59, v60
	v_fma_f16 v2, v41, s4, v2
	v_fma_f16 v47, v43, s3, v48
	v_sub_f16_e32 v33, v45, v33
	v_fma_f16 v58, v59, s2, v58
	v_fma_f16 v2, v59, s2, v2
	;; [unrolled: 1-line block ×3, first 2 shown]
	v_sub_f16_e32 v47, v32, v6
	v_sub_f16_e32 v59, v35, v34
	v_fma_f16 v48, v43, s1, v48
	v_add_f16_e32 v47, v47, v59
	v_fma_f16 v48, v33, s0, v48
	v_fma_f16 v45, v47, s2, v45
	;; [unrolled: 1-line block ×3, first 2 shown]
	v_add_f16_e32 v48, v32, v35
	v_add_f16_e32 v41, v85, v32
	v_fma_f16 v48, v48, -0.5, v85
	v_add_f16_e32 v41, v41, v6
	v_fma_f16 v59, v33, s1, v48
	v_sub_f16_e32 v6, v6, v32
	v_sub_f16_e32 v32, v34, v35
	v_fma_f16 v33, v33, s3, v48
	v_fma_f16 v59, v43, s4, v59
	v_add_f16_e32 v6, v6, v32
	v_fma_f16 v33, v43, s0, v33
	v_fma_f16 v32, v6, s2, v59
	;; [unrolled: 1-line block ×3, first 2 shown]
	v_pack_b32_f16 v33, v49, v51
	v_pack_b32_f16 v0, v0, v3
	;; [unrolled: 1-line block ×3, first 2 shown]
	ds_write_b32 v64, v33
	v_pack_b32_f16 v3, v50, v54
	ds_write2_b32 v79, v0, v1 offset0:195 offset1:208
	v_pack_b32_f16 v0, v8, v22
	v_add_u32_e32 v1, 0x400, v79
	v_pack_b32_f16 v7, v7, v16
	ds_write2_b32 v1, v3, v0 offset0:4 offset1:17
	v_pack_b32_f16 v0, v10, v19
	ds_write2_b32 v79, v7, v0 offset0:13 offset1:26
	v_pack_b32_f16 v0, v20, v26
	v_pack_b32_f16 v8, v27, v44
	;; [unrolled: 1-line block ×5, first 2 shown]
	ds_write2_b32 v79, v0, v8 offset0:91 offset1:104
	v_pack_b32_f16 v0, v57, v29
	v_add_f16_e32 v41, v41, v34
	ds_write2_b32 v79, v4, v9 offset0:130 offset1:143
	v_pack_b32_f16 v4, v14, v11
	ds_write2_b32 v79, v3, v0 offset0:156 offset1:169
	v_pack_b32_f16 v0, v15, v28
	v_add_f16_e32 v41, v41, v35
	v_pack_b32_f16 v5, v12, v40
	ds_write2_b32 v79, v4, v0 offset0:221 offset1:234
	v_pack_b32_f16 v0, v24, v46
	v_pack_b32_f16 v7, v23, v25
	ds_write2_b32 v1, v5, v0 offset0:30 offset1:43
	v_pack_b32_f16 v0, v30, v41
	v_pack_b32_f16 v17, v52, v17
	;; [unrolled: 1-line block ×3, first 2 shown]
	ds_write2_b32 v79, v7, v0 offset0:39 offset1:52
	v_pack_b32_f16 v0, v42, v45
	v_pack_b32_f16 v1, v58, v32
	ds_write2_b32 v79, v17, v16 offset0:65 offset1:78
	ds_write2_b32 v87, v0, v1 offset0:65 offset1:130
	v_pack_b32_f16 v0, v2, v6
	v_pack_b32_f16 v1, v31, v47
	v_add_u32_e32 v2, 0x200, v87
	ds_write2_b32 v2, v0, v1 offset0:67 offset1:132
	s_waitcnt lgkmcnt(0)
	; wave barrier
	s_waitcnt lgkmcnt(0)
	ds_read2_b32 v[0:1], v64 offset1:25
	s_mov_b32 s12, 0x7f9b2ce6
	s_mov_b32 s13, 0x3f6934c6
	v_mad_u64_u32 v[3:4], s[0:1], s10, v38, 0
	s_waitcnt lgkmcnt(0)
	v_lshrrev_b32_e32 v9, 16, v0
	v_mul_f16_sdwa v2, v77, v9 dst_sel:DWORD dst_unused:UNUSED_PAD src0_sel:WORD_1 src1_sel:DWORD
	v_fma_f16 v2, v77, v0, v2
	v_cvt_f32_f16_e32 v2, v2
	s_movk_i32 s15, 0x1ff
	s_movk_i32 s10, 0xffe
	v_mul_f16_sdwa v0, v77, v0 dst_sel:DWORD dst_unused:UNUSED_PAD src0_sel:WORD_1 src1_sel:DWORD
	v_cvt_f64_f32_e32 v[5:6], v2
	v_mov_b32_e32 v2, v4
	v_mad_u64_u32 v[7:8], s[0:1], s11, v38, v[2:3]
	v_mul_f64 v[5:6], v[5:6], s[12:13]
	v_fma_f16 v0, v77, v9, -v0
	v_mov_b32_e32 v4, v7
	v_cvt_f32_f16_e32 v0, v0
	s_movk_i32 s11, 0x40f
	s_mov_b32 s14, 0x8000
	v_lshlrev_b64 v[3:4], 2, v[3:4]
	v_and_or_b32 v2, v6, s15, v5
	v_cmp_ne_u32_e64 s[0:1], 0, v2
	v_cndmask_b32_e64 v2, 0, 1, s[0:1]
	v_lshrrev_b32_e32 v5, 8, v6
	v_bfe_u32 v7, v6, 20, 11
	v_and_or_b32 v5, v5, s10, v2
	v_sub_u32_e32 v8, 0x3f1, v7
	v_or_b32_e32 v2, 0x1000, v5
	v_med3_i32 v8, v8, 0, 13
	v_lshrrev_b32_e32 v10, v8, v2
	v_lshlrev_b32_e32 v8, v8, v10
	v_cmp_ne_u32_e64 s[0:1], v8, v2
	v_cndmask_b32_e64 v2, 0, 1, s[0:1]
	v_or_b32_e32 v2, v10, v2
	v_add_u32_e32 v10, 0xfffffc10, v7
	v_lshl_or_b32 v7, v10, 12, v5
	v_cmp_gt_i32_e64 s[0:1], 1, v10
	v_cndmask_b32_e64 v2, v7, v2, s[0:1]
	v_and_b32_e32 v7, 7, v2
	v_cmp_lt_i32_e64 s[0:1], 5, v7
	v_cmp_eq_u32_e64 s[2:3], 3, v7
	v_cvt_f64_f32_e32 v[7:8], v0
	v_lshrrev_b32_e32 v2, 2, v2
	s_or_b64 s[0:1], s[2:3], s[0:1]
	v_addc_co_u32_e64 v9, s[0:1], 0, v2, s[0:1]
	v_mul_f64 v[7:8], v[7:8], s[12:13]
	v_mov_b32_e32 v2, 0x7c00
	v_cmp_gt_i32_e64 s[0:1], 31, v10
	v_cndmask_b32_e64 v0, v2, v9, s[0:1]
	v_cmp_ne_u32_e64 s[0:1], 0, v5
	v_cndmask_b32_e64 v5, 0, 1, s[0:1]
	v_lshl_or_b32 v5, v5, 9, v2
	v_cmp_eq_u32_e64 s[0:1], s11, v10
	v_cndmask_b32_e64 v0, v0, v5, s[0:1]
	v_lshrrev_b32_e32 v5, 16, v6
	v_and_or_b32 v9, v5, s14, v0
	v_and_or_b32 v0, v8, s15, v7
	v_cmp_ne_u32_e64 s[0:1], 0, v0
	v_cndmask_b32_e64 v0, 0, 1, s[0:1]
	v_lshrrev_b32_e32 v5, 8, v8
	v_bfe_u32 v6, v8, 20, 11
	v_and_or_b32 v0, v5, s10, v0
	v_sub_u32_e32 v7, 0x3f1, v6
	v_or_b32_e32 v5, 0x1000, v0
	v_med3_i32 v7, v7, 0, 13
	v_lshrrev_b32_e32 v10, v7, v5
	v_lshlrev_b32_e32 v7, v7, v10
	v_cmp_ne_u32_e64 s[0:1], v7, v5
	v_cndmask_b32_e64 v5, 0, 1, s[0:1]
	v_add_u32_e32 v7, 0xfffffc10, v6
	v_or_b32_e32 v5, v10, v5
	v_lshl_or_b32 v6, v7, 12, v0
	v_cmp_gt_i32_e64 s[0:1], 1, v7
	v_cndmask_b32_e64 v5, v6, v5, s[0:1]
	v_and_b32_e32 v6, 7, v5
	v_cmp_lt_i32_e64 s[0:1], 5, v6
	v_cmp_eq_u32_e64 s[2:3], 3, v6
	v_lshrrev_b32_e32 v5, 2, v5
	s_or_b64 s[0:1], s[2:3], s[0:1]
	v_addc_co_u32_e64 v5, s[0:1], 0, v5, s[0:1]
	v_cmp_gt_i32_e64 s[0:1], 31, v7
	v_cndmask_b32_e64 v10, v2, v5, s[0:1]
	v_cmp_ne_u32_e64 s[0:1], 0, v0
	v_cndmask_b32_e64 v0, 0, 1, s[0:1]
	v_mad_u64_u32 v[5:6], s[0:1], s8, v63, 0
	v_lshl_or_b32 v0, v0, 9, v2
	v_cmp_eq_u32_e64 s[0:1], s11, v7
	v_cndmask_b32_e64 v10, v10, v0, s[0:1]
	v_mov_b32_e32 v0, v6
	v_mad_u64_u32 v[6:7], s[0:1], s9, v63, v[0:1]
	v_lshrrev_b32_e32 v0, 16, v1
	v_mul_f16_sdwa v7, v76, v0 dst_sel:DWORD dst_unused:UNUSED_PAD src0_sel:WORD_1 src1_sel:DWORD
	v_fma_f16 v7, v76, v1, v7
	v_cvt_f32_f16_e32 v7, v7
	v_lshrrev_b32_e32 v8, 16, v8
	v_and_or_b32 v10, v8, s14, v10
	v_and_b32_e32 v9, 0xffff, v9
	v_cvt_f64_f32_e32 v[7:8], v7
	v_lshl_or_b32 v9, v10, 16, v9
	v_mov_b32_e32 v10, s7
	v_add_co_u32_e64 v3, s[0:1], s6, v3
	v_mul_f64 v[7:8], v[7:8], s[12:13]
	v_lshlrev_b64 v[5:6], 2, v[5:6]
	v_addc_co_u32_e64 v4, s[0:1], v10, v4, s[0:1]
	v_add_co_u32_e64 v5, s[0:1], v3, v5
	v_addc_co_u32_e64 v6, s[0:1], v4, v6, s[0:1]
	v_and_or_b32 v7, v8, s15, v7
	v_mul_f16_sdwa v1, v76, v1 dst_sel:DWORD dst_unused:UNUSED_PAD src0_sel:WORD_1 src1_sel:DWORD
	v_cmp_ne_u32_e64 s[0:1], 0, v7
	v_fma_f16 v0, v76, v0, -v1
	global_store_dword v[5:6], v9, off
	v_cndmask_b32_e64 v7, 0, 1, s[0:1]
	v_lshrrev_b32_e32 v9, 8, v8
	v_bfe_u32 v10, v8, 20, 11
	v_cvt_f32_f16_e32 v0, v0
	v_and_or_b32 v7, v9, s10, v7
	v_sub_u32_e32 v11, 0x3f1, v10
	v_or_b32_e32 v9, 0x1000, v7
	v_med3_i32 v11, v11, 0, 13
	v_lshrrev_b32_e32 v12, v11, v9
	v_lshlrev_b32_e32 v11, v11, v12
	v_cvt_f64_f32_e32 v[0:1], v0
	v_cmp_ne_u32_e64 s[0:1], v11, v9
	v_cndmask_b32_e64 v9, 0, 1, s[0:1]
	v_add_u32_e32 v10, 0xfffffc10, v10
	v_or_b32_e32 v9, v12, v9
	v_lshl_or_b32 v11, v10, 12, v7
	v_cmp_gt_i32_e64 s[0:1], 1, v10
	v_cndmask_b32_e64 v9, v11, v9, s[0:1]
	v_mul_f64 v[0:1], v[0:1], s[12:13]
	v_and_b32_e32 v11, 7, v9
	v_cmp_lt_i32_e64 s[0:1], 5, v11
	v_cmp_eq_u32_e64 s[2:3], 3, v11
	v_lshrrev_b32_e32 v9, 2, v9
	s_or_b64 s[0:1], s[2:3], s[0:1]
	v_addc_co_u32_e64 v9, s[0:1], 0, v9, s[0:1]
	v_cmp_gt_i32_e64 s[0:1], 31, v10
	v_cndmask_b32_e64 v9, v2, v9, s[0:1]
	v_cmp_ne_u32_e64 s[0:1], 0, v7
	v_cndmask_b32_e64 v7, 0, 1, s[0:1]
	v_lshl_or_b32 v7, v7, 9, v2
	v_cmp_eq_u32_e64 s[0:1], s11, v10
	v_and_or_b32 v0, v1, s15, v0
	v_cndmask_b32_e64 v7, v9, v7, s[0:1]
	v_lshrrev_b32_e32 v8, 16, v8
	v_cmp_ne_u32_e64 s[0:1], 0, v0
	v_and_or_b32 v9, v8, s14, v7
	v_cndmask_b32_e64 v0, 0, 1, s[0:1]
	v_lshrrev_b32_e32 v7, 8, v1
	v_bfe_u32 v8, v1, 20, 11
	v_and_or_b32 v0, v7, s10, v0
	v_sub_u32_e32 v10, 0x3f1, v8
	v_or_b32_e32 v7, 0x1000, v0
	v_med3_i32 v10, v10, 0, 13
	v_lshrrev_b32_e32 v11, v10, v7
	v_lshlrev_b32_e32 v10, v10, v11
	v_cmp_ne_u32_e64 s[0:1], v10, v7
	v_cndmask_b32_e64 v7, 0, 1, s[0:1]
	v_add_u32_e32 v10, 0xfffffc10, v8
	v_or_b32_e32 v7, v11, v7
	v_lshl_or_b32 v8, v10, 12, v0
	v_cmp_gt_i32_e64 s[0:1], 1, v10
	v_cndmask_b32_e64 v7, v8, v7, s[0:1]
	v_and_b32_e32 v8, 7, v7
	v_cmp_lt_i32_e64 s[0:1], 5, v8
	v_cmp_eq_u32_e64 s[2:3], 3, v8
	v_lshrrev_b32_e32 v7, 2, v7
	s_or_b64 s[0:1], s[2:3], s[0:1]
	v_addc_co_u32_e64 v7, s[0:1], 0, v7, s[0:1]
	v_cmp_gt_i32_e64 s[0:1], 31, v10
	v_cndmask_b32_e64 v11, v2, v7, s[0:1]
	ds_read2_b32 v[7:8], v64 offset0:50 offset1:75
	v_cmp_ne_u32_e64 s[0:1], 0, v0
	v_cndmask_b32_e64 v0, 0, 1, s[0:1]
	v_lshl_or_b32 v0, v0, 9, v2
	v_cmp_eq_u32_e64 s[0:1], s11, v10
	v_cndmask_b32_e64 v0, v11, v0, s[0:1]
	v_lshrrev_b32_e32 v1, 16, v1
	s_waitcnt lgkmcnt(0)
	v_lshrrev_b32_e32 v11, 16, v7
	v_and_or_b32 v10, v1, s14, v0
	v_mul_f16_sdwa v0, v75, v11 dst_sel:DWORD dst_unused:UNUSED_PAD src0_sel:WORD_1 src1_sel:DWORD
	v_fma_f16 v0, v75, v7, v0
	v_cvt_f32_f16_e32 v0, v0
	v_and_b32_e32 v9, 0xffff, v9
	v_lshl_or_b32 v12, v10, 16, v9
	s_mul_i32 s0, s9, 25
	v_cvt_f64_f32_e32 v[0:1], v0
	s_mul_hi_u32 s1, s8, 25
	s_add_i32 s1, s1, s0
	s_mul_i32 s0, s8, 25
	v_mul_f64 v[9:10], v[0:1], s[12:13]
	s_lshl_b64 s[6:7], s[0:1], 2
	v_mov_b32_e32 v1, s7
	v_add_co_u32_e64 v5, s[0:1], s6, v5
	v_addc_co_u32_e64 v6, s[0:1], v6, v1, s[0:1]
	global_store_dword v[5:6], v12, off
	v_and_or_b32 v0, v10, s15, v9
	v_cmp_ne_u32_e64 s[0:1], 0, v0
	v_cndmask_b32_e64 v0, 0, 1, s[0:1]
	v_lshrrev_b32_e32 v9, 8, v10
	v_bfe_u32 v12, v10, 20, 11
	v_and_or_b32 v0, v9, s10, v0
	v_sub_u32_e32 v13, 0x3f1, v12
	v_or_b32_e32 v9, 0x1000, v0
	v_med3_i32 v13, v13, 0, 13
	v_lshrrev_b32_e32 v14, v13, v9
	v_lshlrev_b32_e32 v13, v13, v14
	v_mul_f16_sdwa v7, v75, v7 dst_sel:DWORD dst_unused:UNUSED_PAD src0_sel:WORD_1 src1_sel:DWORD
	v_cmp_ne_u32_e64 s[0:1], v13, v9
	v_fma_f16 v7, v75, v11, -v7
	v_cndmask_b32_e64 v9, 0, 1, s[0:1]
	v_add_u32_e32 v13, 0xfffffc10, v12
	v_cvt_f32_f16_e32 v7, v7
	v_or_b32_e32 v9, v14, v9
	v_lshl_or_b32 v12, v13, 12, v0
	v_cmp_gt_i32_e64 s[0:1], 1, v13
	v_cndmask_b32_e64 v9, v12, v9, s[0:1]
	v_and_b32_e32 v12, 7, v9
	v_cmp_lt_i32_e64 s[0:1], 5, v12
	v_cmp_eq_u32_e64 s[2:3], 3, v12
	v_cvt_f64_f32_e32 v[11:12], v7
	v_lshrrev_b32_e32 v9, 2, v9
	s_or_b64 s[0:1], s[2:3], s[0:1]
	v_addc_co_u32_e64 v7, s[0:1], 0, v9, s[0:1]
	v_mul_f64 v[11:12], v[11:12], s[12:13]
	v_cmp_gt_i32_e64 s[0:1], 31, v13
	v_cndmask_b32_e64 v7, v2, v7, s[0:1]
	v_cmp_ne_u32_e64 s[0:1], 0, v0
	v_cndmask_b32_e64 v0, 0, 1, s[0:1]
	v_lshl_or_b32 v0, v0, 9, v2
	v_cmp_eq_u32_e64 s[0:1], s11, v13
	v_cndmask_b32_e64 v0, v7, v0, s[0:1]
	v_lshrrev_b32_e32 v7, 16, v10
	v_and_or_b32 v0, v7, s14, v0
	v_and_or_b32 v7, v12, s15, v11
	v_cmp_ne_u32_e64 s[0:1], 0, v7
	v_cndmask_b32_e64 v7, 0, 1, s[0:1]
	v_lshrrev_b32_e32 v9, 8, v12
	v_bfe_u32 v10, v12, 20, 11
	v_and_or_b32 v7, v9, s10, v7
	v_sub_u32_e32 v11, 0x3f1, v10
	v_or_b32_e32 v9, 0x1000, v7
	v_med3_i32 v11, v11, 0, 13
	v_lshrrev_b32_e32 v13, v11, v9
	v_lshlrev_b32_e32 v11, v11, v13
	v_cmp_ne_u32_e64 s[0:1], v11, v9
	v_cndmask_b32_e64 v9, 0, 1, s[0:1]
	v_add_u32_e32 v11, 0xfffffc10, v10
	v_or_b32_e32 v9, v13, v9
	v_lshl_or_b32 v10, v11, 12, v7
	v_cmp_gt_i32_e64 s[0:1], 1, v11
	v_cndmask_b32_e64 v9, v10, v9, s[0:1]
	v_and_b32_e32 v10, 7, v9
	v_cmp_lt_i32_e64 s[0:1], 5, v10
	v_cmp_eq_u32_e64 s[2:3], 3, v10
	v_lshrrev_b32_e32 v9, 2, v9
	s_or_b64 s[0:1], s[2:3], s[0:1]
	v_addc_co_u32_e64 v9, s[0:1], 0, v9, s[0:1]
	v_cmp_gt_i32_e64 s[0:1], 31, v11
	v_lshrrev_b32_e32 v14, 16, v8
	v_cndmask_b32_e64 v13, v2, v9, s[0:1]
	v_mul_f16_sdwa v9, v74, v14 dst_sel:DWORD dst_unused:UNUSED_PAD src0_sel:WORD_1 src1_sel:DWORD
	v_fma_f16 v9, v74, v8, v9
	v_cvt_f32_f16_e32 v9, v9
	v_cmp_ne_u32_e64 s[0:1], 0, v7
	v_cndmask_b32_e64 v7, 0, 1, s[0:1]
	v_lshl_or_b32 v7, v7, 9, v2
	v_cvt_f64_f32_e32 v[9:10], v9
	v_cmp_eq_u32_e64 s[0:1], s11, v11
	v_cndmask_b32_e64 v7, v13, v7, s[0:1]
	v_lshrrev_b32_e32 v11, 16, v12
	v_mul_f64 v[9:10], v[9:10], s[12:13]
	v_and_or_b32 v7, v11, s14, v7
	v_and_b32_e32 v0, 0xffff, v0
	v_add_co_u32_e64 v5, s[0:1], s6, v5
	v_lshl_or_b32 v0, v7, 16, v0
	v_addc_co_u32_e64 v6, s[0:1], v6, v1, s[0:1]
	global_store_dword v[5:6], v0, off
	v_and_or_b32 v0, v10, s15, v9
	v_cmp_ne_u32_e64 s[0:1], 0, v0
	v_cndmask_b32_e64 v0, 0, 1, s[0:1]
	v_lshrrev_b32_e32 v7, 8, v10
	v_bfe_u32 v9, v10, 20, 11
	v_and_or_b32 v0, v7, s10, v0
	v_sub_u32_e32 v11, 0x3f1, v9
	v_or_b32_e32 v7, 0x1000, v0
	v_med3_i32 v11, v11, 0, 13
	v_lshrrev_b32_e32 v12, v11, v7
	v_lshlrev_b32_e32 v11, v11, v12
	v_mul_f16_sdwa v8, v74, v8 dst_sel:DWORD dst_unused:UNUSED_PAD src0_sel:WORD_1 src1_sel:DWORD
	v_cmp_ne_u32_e64 s[0:1], v11, v7
	v_fma_f16 v8, v74, v14, -v8
	v_cndmask_b32_e64 v7, 0, 1, s[0:1]
	v_add_u32_e32 v9, 0xfffffc10, v9
	v_cvt_f32_f16_e32 v8, v8
	v_or_b32_e32 v7, v12, v7
	v_lshl_or_b32 v11, v9, 12, v0
	v_cmp_gt_i32_e64 s[0:1], 1, v9
	v_cndmask_b32_e64 v7, v11, v7, s[0:1]
	v_and_b32_e32 v11, 7, v7
	v_cmp_lt_i32_e64 s[0:1], 5, v11
	v_cmp_eq_u32_e64 s[2:3], 3, v11
	v_lshrrev_b32_e32 v11, 2, v7
	v_cvt_f64_f32_e32 v[7:8], v8
	s_or_b64 s[0:1], s[2:3], s[0:1]
	v_addc_co_u32_e64 v11, s[0:1], 0, v11, s[0:1]
	v_mul_f64 v[7:8], v[7:8], s[12:13]
	v_cmp_gt_i32_e64 s[0:1], 31, v9
	v_cndmask_b32_e64 v11, v2, v11, s[0:1]
	v_cmp_ne_u32_e64 s[0:1], 0, v0
	v_cndmask_b32_e64 v0, 0, 1, s[0:1]
	v_lshl_or_b32 v0, v0, 9, v2
	v_cmp_eq_u32_e64 s[0:1], s11, v9
	v_cndmask_b32_e64 v0, v11, v0, s[0:1]
	v_and_or_b32 v7, v8, s15, v7
	v_lshrrev_b32_e32 v9, 16, v10
	v_cmp_ne_u32_e64 s[0:1], 0, v7
	v_and_or_b32 v0, v9, s14, v0
	v_cndmask_b32_e64 v7, 0, 1, s[0:1]
	v_lshrrev_b32_e32 v9, 8, v8
	v_bfe_u32 v10, v8, 20, 11
	v_and_or_b32 v7, v9, s10, v7
	v_sub_u32_e32 v11, 0x3f1, v10
	v_or_b32_e32 v9, 0x1000, v7
	v_med3_i32 v11, v11, 0, 13
	v_lshrrev_b32_e32 v12, v11, v9
	v_lshlrev_b32_e32 v11, v11, v12
	v_cmp_ne_u32_e64 s[0:1], v11, v9
	v_cndmask_b32_e64 v9, 0, 1, s[0:1]
	v_add_u32_e32 v13, 0xfffffc10, v10
	v_or_b32_e32 v9, v12, v9
	v_lshl_or_b32 v10, v13, 12, v7
	v_cmp_gt_i32_e64 s[0:1], 1, v13
	v_cndmask_b32_e64 v9, v10, v9, s[0:1]
	v_and_b32_e32 v10, 7, v9
	v_cmp_lt_i32_e64 s[0:1], 5, v10
	v_cmp_eq_u32_e64 s[2:3], 3, v10
	v_lshrrev_b32_e32 v11, 2, v9
	ds_read2_b32 v[9:10], v64 offset0:100 offset1:125
	s_or_b64 s[0:1], s[2:3], s[0:1]
	v_addc_co_u32_e64 v11, s[0:1], 0, v11, s[0:1]
	v_cmp_gt_i32_e64 s[0:1], 31, v13
	s_waitcnt lgkmcnt(0)
	v_lshrrev_b32_e32 v15, 16, v9
	v_cndmask_b32_e64 v14, v2, v11, s[0:1]
	v_mul_f16_sdwa v11, v73, v15 dst_sel:DWORD dst_unused:UNUSED_PAD src0_sel:WORD_1 src1_sel:DWORD
	v_fma_f16 v11, v73, v9, v11
	v_cvt_f32_f16_e32 v11, v11
	v_cmp_ne_u32_e64 s[0:1], 0, v7
	v_cndmask_b32_e64 v7, 0, 1, s[0:1]
	v_lshl_or_b32 v7, v7, 9, v2
	v_cvt_f64_f32_e32 v[11:12], v11
	v_cmp_eq_u32_e64 s[0:1], s11, v13
	v_cndmask_b32_e64 v7, v14, v7, s[0:1]
	v_lshrrev_b32_e32 v8, 16, v8
	v_and_or_b32 v13, v8, s14, v7
	v_mul_f64 v[7:8], v[11:12], s[12:13]
	v_and_b32_e32 v0, 0xffff, v0
	v_add_co_u32_e64 v5, s[0:1], s6, v5
	v_lshl_or_b32 v0, v13, 16, v0
	v_addc_co_u32_e64 v6, s[0:1], v6, v1, s[0:1]
	global_store_dword v[5:6], v0, off
	v_and_or_b32 v0, v8, s15, v7
	v_cmp_ne_u32_e64 s[0:1], 0, v0
	v_cndmask_b32_e64 v0, 0, 1, s[0:1]
	v_lshrrev_b32_e32 v7, 8, v8
	v_bfe_u32 v11, v8, 20, 11
	v_and_or_b32 v0, v7, s10, v0
	v_sub_u32_e32 v12, 0x3f1, v11
	v_or_b32_e32 v7, 0x1000, v0
	v_med3_i32 v12, v12, 0, 13
	v_lshrrev_b32_e32 v13, v12, v7
	v_lshlrev_b32_e32 v12, v12, v13
	v_cmp_ne_u32_e64 s[0:1], v12, v7
	v_mul_f16_sdwa v9, v73, v9 dst_sel:DWORD dst_unused:UNUSED_PAD src0_sel:WORD_1 src1_sel:DWORD
	v_cndmask_b32_e64 v7, 0, 1, s[0:1]
	v_fma_f16 v9, v73, v15, -v9
	v_or_b32_e32 v7, v13, v7
	v_add_u32_e32 v13, 0xfffffc10, v11
	v_cvt_f32_f16_e32 v9, v9
	v_lshl_or_b32 v11, v13, 12, v0
	v_cmp_gt_i32_e64 s[0:1], 1, v13
	v_cndmask_b32_e64 v7, v11, v7, s[0:1]
	v_and_b32_e32 v11, 7, v7
	v_cmp_lt_i32_e64 s[0:1], 5, v11
	v_cmp_eq_u32_e64 s[2:3], 3, v11
	v_cvt_f64_f32_e32 v[11:12], v9
	v_lshrrev_b32_e32 v7, 2, v7
	s_or_b64 s[0:1], s[2:3], s[0:1]
	v_addc_co_u32_e64 v7, s[0:1], 0, v7, s[0:1]
	v_mul_f64 v[11:12], v[11:12], s[12:13]
	v_cmp_gt_i32_e64 s[0:1], 31, v13
	v_cndmask_b32_e64 v7, v2, v7, s[0:1]
	v_cmp_ne_u32_e64 s[0:1], 0, v0
	v_cndmask_b32_e64 v0, 0, 1, s[0:1]
	v_lshl_or_b32 v0, v0, 9, v2
	v_cmp_eq_u32_e64 s[0:1], s11, v13
	v_cndmask_b32_e64 v0, v7, v0, s[0:1]
	v_lshrrev_b32_e32 v7, 16, v8
	v_and_or_b32 v0, v7, s14, v0
	v_and_or_b32 v7, v12, s15, v11
	v_cmp_ne_u32_e64 s[0:1], 0, v7
	v_cndmask_b32_e64 v7, 0, 1, s[0:1]
	v_lshrrev_b32_e32 v8, 8, v12
	v_bfe_u32 v9, v12, 20, 11
	v_and_or_b32 v7, v8, s10, v7
	v_sub_u32_e32 v11, 0x3f1, v9
	v_or_b32_e32 v8, 0x1000, v7
	v_med3_i32 v11, v11, 0, 13
	v_lshrrev_b32_e32 v13, v11, v8
	v_lshlrev_b32_e32 v11, v11, v13
	v_cmp_ne_u32_e64 s[0:1], v11, v8
	v_cndmask_b32_e64 v8, 0, 1, s[0:1]
	v_add_u32_e32 v9, 0xfffffc10, v9
	v_or_b32_e32 v8, v13, v8
	v_lshl_or_b32 v11, v9, 12, v7
	v_cmp_gt_i32_e64 s[0:1], 1, v9
	v_cndmask_b32_e64 v8, v11, v8, s[0:1]
	v_and_b32_e32 v11, 7, v8
	v_cmp_lt_i32_e64 s[0:1], 5, v11
	v_cmp_eq_u32_e64 s[2:3], 3, v11
	v_lshrrev_b32_e32 v8, 2, v8
	s_or_b64 s[0:1], s[2:3], s[0:1]
	v_addc_co_u32_e64 v8, s[0:1], 0, v8, s[0:1]
	v_cmp_gt_i32_e64 s[0:1], 31, v9
	v_lshrrev_b32_e32 v13, 16, v10
	v_cndmask_b32_e64 v11, v2, v8, s[0:1]
	v_mul_f16_sdwa v8, v72, v13 dst_sel:DWORD dst_unused:UNUSED_PAD src0_sel:WORD_1 src1_sel:DWORD
	v_fma_f16 v8, v72, v10, v8
	v_cvt_f32_f16_e32 v8, v8
	v_cmp_ne_u32_e64 s[0:1], 0, v7
	v_cndmask_b32_e64 v7, 0, 1, s[0:1]
	v_lshl_or_b32 v14, v7, 9, v2
	v_cvt_f64_f32_e32 v[7:8], v8
	v_cmp_eq_u32_e64 s[0:1], s11, v9
	v_cndmask_b32_e64 v9, v11, v14, s[0:1]
	v_lshrrev_b32_e32 v11, 16, v12
	v_mul_f64 v[7:8], v[7:8], s[12:13]
	v_and_or_b32 v9, v11, s14, v9
	v_and_b32_e32 v0, 0xffff, v0
	v_add_co_u32_e64 v5, s[0:1], s6, v5
	v_lshl_or_b32 v0, v9, 16, v0
	v_addc_co_u32_e64 v6, s[0:1], v6, v1, s[0:1]
	global_store_dword v[5:6], v0, off
	v_and_or_b32 v0, v8, s15, v7
	v_cmp_ne_u32_e64 s[0:1], 0, v0
	v_cndmask_b32_e64 v0, 0, 1, s[0:1]
	v_lshrrev_b32_e32 v7, 8, v8
	v_bfe_u32 v9, v8, 20, 11
	v_and_or_b32 v0, v7, s10, v0
	v_sub_u32_e32 v11, 0x3f1, v9
	v_or_b32_e32 v7, 0x1000, v0
	v_med3_i32 v11, v11, 0, 13
	v_lshrrev_b32_e32 v12, v11, v7
	v_lshlrev_b32_e32 v11, v11, v12
	v_mul_f16_sdwa v10, v72, v10 dst_sel:DWORD dst_unused:UNUSED_PAD src0_sel:WORD_1 src1_sel:DWORD
	v_cmp_ne_u32_e64 s[0:1], v11, v7
	v_fma_f16 v10, v72, v13, -v10
	v_cndmask_b32_e64 v7, 0, 1, s[0:1]
	v_add_u32_e32 v11, 0xfffffc10, v9
	v_cvt_f32_f16_e32 v10, v10
	v_or_b32_e32 v7, v12, v7
	v_lshl_or_b32 v9, v11, 12, v0
	v_cmp_gt_i32_e64 s[0:1], 1, v11
	v_cndmask_b32_e64 v7, v9, v7, s[0:1]
	v_and_b32_e32 v9, 7, v7
	v_cmp_lt_i32_e64 s[0:1], 5, v9
	v_cmp_eq_u32_e64 s[2:3], 3, v9
	v_cvt_f64_f32_e32 v[9:10], v10
	v_lshrrev_b32_e32 v7, 2, v7
	s_or_b64 s[0:1], s[2:3], s[0:1]
	v_addc_co_u32_e64 v7, s[0:1], 0, v7, s[0:1]
	v_mul_f64 v[9:10], v[9:10], s[12:13]
	v_cmp_gt_i32_e64 s[0:1], 31, v11
	v_cndmask_b32_e64 v7, v2, v7, s[0:1]
	v_cmp_ne_u32_e64 s[0:1], 0, v0
	v_cndmask_b32_e64 v0, 0, 1, s[0:1]
	v_lshl_or_b32 v0, v0, 9, v2
	v_cmp_eq_u32_e64 s[0:1], s11, v11
	v_cndmask_b32_e64 v0, v7, v0, s[0:1]
	v_lshrrev_b32_e32 v7, 16, v8
	v_and_or_b32 v0, v7, s14, v0
	v_and_or_b32 v7, v10, s15, v9
	v_cmp_ne_u32_e64 s[0:1], 0, v7
	v_cndmask_b32_e64 v7, 0, 1, s[0:1]
	v_lshrrev_b32_e32 v8, 8, v10
	v_and_or_b32 v9, v8, s10, v7
	v_bfe_u32 v8, v10, 20, 11
	v_sub_u32_e32 v11, 0x3f1, v8
	v_or_b32_e32 v7, 0x1000, v9
	v_med3_i32 v11, v11, 0, 13
	v_lshrrev_b32_e32 v12, v11, v7
	v_lshlrev_b32_e32 v11, v11, v12
	v_cmp_ne_u32_e64 s[0:1], v11, v7
	v_cndmask_b32_e64 v7, 0, 1, s[0:1]
	v_add_u32_e32 v13, 0xfffffc10, v8
	v_or_b32_e32 v7, v12, v7
	v_lshl_or_b32 v8, v13, 12, v9
	v_cmp_gt_i32_e64 s[0:1], 1, v13
	v_cndmask_b32_e64 v7, v8, v7, s[0:1]
	v_and_b32_e32 v8, 7, v7
	v_cmp_lt_i32_e64 s[0:1], 5, v8
	v_cmp_eq_u32_e64 s[2:3], 3, v8
	v_lshrrev_b32_e32 v11, 2, v7
	ds_read2_b32 v[7:8], v64 offset0:150 offset1:175
	s_or_b64 s[0:1], s[2:3], s[0:1]
	v_addc_co_u32_e64 v11, s[0:1], 0, v11, s[0:1]
	v_cmp_gt_i32_e64 s[0:1], 31, v13
	s_waitcnt lgkmcnt(0)
	v_lshrrev_b32_e32 v15, 16, v7
	v_cndmask_b32_e64 v14, v2, v11, s[0:1]
	v_mul_f16_sdwa v11, v71, v15 dst_sel:DWORD dst_unused:UNUSED_PAD src0_sel:WORD_1 src1_sel:DWORD
	v_fma_f16 v11, v71, v7, v11
	v_cvt_f32_f16_e32 v11, v11
	v_cmp_ne_u32_e64 s[0:1], 0, v9
	v_cndmask_b32_e64 v9, 0, 1, s[0:1]
	v_lshl_or_b32 v9, v9, 9, v2
	v_cvt_f64_f32_e32 v[11:12], v11
	v_cmp_eq_u32_e64 s[0:1], s11, v13
	v_cndmask_b32_e64 v9, v14, v9, s[0:1]
	v_lshrrev_b32_e32 v10, 16, v10
	v_and_or_b32 v13, v10, s14, v9
	v_mul_f64 v[9:10], v[11:12], s[12:13]
	v_and_b32_e32 v0, 0xffff, v0
	v_add_co_u32_e64 v5, s[0:1], s6, v5
	v_lshl_or_b32 v0, v13, 16, v0
	v_addc_co_u32_e64 v6, s[0:1], v6, v1, s[0:1]
	global_store_dword v[5:6], v0, off
	v_and_or_b32 v0, v10, s15, v9
	v_cmp_ne_u32_e64 s[0:1], 0, v0
	v_cndmask_b32_e64 v0, 0, 1, s[0:1]
	v_lshrrev_b32_e32 v9, 8, v10
	v_bfe_u32 v11, v10, 20, 11
	v_and_or_b32 v0, v9, s10, v0
	v_sub_u32_e32 v12, 0x3f1, v11
	v_or_b32_e32 v9, 0x1000, v0
	v_med3_i32 v12, v12, 0, 13
	v_lshrrev_b32_e32 v13, v12, v9
	v_lshlrev_b32_e32 v12, v12, v13
	v_cmp_ne_u32_e64 s[0:1], v12, v9
	v_mul_f16_sdwa v7, v71, v7 dst_sel:DWORD dst_unused:UNUSED_PAD src0_sel:WORD_1 src1_sel:DWORD
	v_cndmask_b32_e64 v9, 0, 1, s[0:1]
	v_fma_f16 v7, v71, v15, -v7
	v_or_b32_e32 v9, v13, v9
	v_add_u32_e32 v13, 0xfffffc10, v11
	v_cvt_f32_f16_e32 v7, v7
	v_lshl_or_b32 v11, v13, 12, v0
	v_cmp_gt_i32_e64 s[0:1], 1, v13
	v_cndmask_b32_e64 v9, v11, v9, s[0:1]
	v_and_b32_e32 v11, 7, v9
	v_cmp_lt_i32_e64 s[0:1], 5, v11
	v_cmp_eq_u32_e64 s[2:3], 3, v11
	v_cvt_f64_f32_e32 v[11:12], v7
	v_lshrrev_b32_e32 v9, 2, v9
	s_or_b64 s[0:1], s[2:3], s[0:1]
	v_addc_co_u32_e64 v7, s[0:1], 0, v9, s[0:1]
	v_mul_f64 v[11:12], v[11:12], s[12:13]
	v_cmp_gt_i32_e64 s[0:1], 31, v13
	v_cndmask_b32_e64 v7, v2, v7, s[0:1]
	v_cmp_ne_u32_e64 s[0:1], 0, v0
	v_cndmask_b32_e64 v0, 0, 1, s[0:1]
	v_lshl_or_b32 v0, v0, 9, v2
	v_cmp_eq_u32_e64 s[0:1], s11, v13
	v_cndmask_b32_e64 v0, v7, v0, s[0:1]
	v_lshrrev_b32_e32 v7, 16, v10
	v_and_or_b32 v0, v7, s14, v0
	v_and_or_b32 v7, v12, s15, v11
	v_cmp_ne_u32_e64 s[0:1], 0, v7
	v_cndmask_b32_e64 v7, 0, 1, s[0:1]
	v_lshrrev_b32_e32 v9, 8, v12
	v_bfe_u32 v10, v12, 20, 11
	v_and_or_b32 v7, v9, s10, v7
	v_sub_u32_e32 v11, 0x3f1, v10
	v_or_b32_e32 v9, 0x1000, v7
	v_med3_i32 v11, v11, 0, 13
	v_lshrrev_b32_e32 v13, v11, v9
	v_lshlrev_b32_e32 v11, v11, v13
	v_cmp_ne_u32_e64 s[0:1], v11, v9
	v_cndmask_b32_e64 v9, 0, 1, s[0:1]
	v_add_u32_e32 v11, 0xfffffc10, v10
	v_or_b32_e32 v9, v13, v9
	v_lshl_or_b32 v10, v11, 12, v7
	v_cmp_gt_i32_e64 s[0:1], 1, v11
	v_cndmask_b32_e64 v9, v10, v9, s[0:1]
	v_and_b32_e32 v10, 7, v9
	v_cmp_lt_i32_e64 s[0:1], 5, v10
	v_cmp_eq_u32_e64 s[2:3], 3, v10
	v_lshrrev_b32_e32 v9, 2, v9
	s_or_b64 s[0:1], s[2:3], s[0:1]
	v_addc_co_u32_e64 v9, s[0:1], 0, v9, s[0:1]
	v_cmp_gt_i32_e64 s[0:1], 31, v11
	v_lshrrev_b32_e32 v14, 16, v8
	v_cndmask_b32_e64 v13, v2, v9, s[0:1]
	v_mul_f16_sdwa v9, v70, v14 dst_sel:DWORD dst_unused:UNUSED_PAD src0_sel:WORD_1 src1_sel:DWORD
	v_fma_f16 v9, v70, v8, v9
	v_cvt_f32_f16_e32 v9, v9
	v_cmp_ne_u32_e64 s[0:1], 0, v7
	v_cndmask_b32_e64 v7, 0, 1, s[0:1]
	v_lshl_or_b32 v7, v7, 9, v2
	v_cvt_f64_f32_e32 v[9:10], v9
	v_cmp_eq_u32_e64 s[0:1], s11, v11
	v_cndmask_b32_e64 v7, v13, v7, s[0:1]
	v_lshrrev_b32_e32 v11, 16, v12
	v_mul_f64 v[9:10], v[9:10], s[12:13]
	v_and_or_b32 v7, v11, s14, v7
	v_and_b32_e32 v0, 0xffff, v0
	v_add_co_u32_e64 v5, s[0:1], s6, v5
	v_lshl_or_b32 v0, v7, 16, v0
	v_addc_co_u32_e64 v6, s[0:1], v6, v1, s[0:1]
	global_store_dword v[5:6], v0, off
	v_and_or_b32 v0, v10, s15, v9
	v_cmp_ne_u32_e64 s[0:1], 0, v0
	v_cndmask_b32_e64 v0, 0, 1, s[0:1]
	v_lshrrev_b32_e32 v7, 8, v10
	v_bfe_u32 v9, v10, 20, 11
	v_and_or_b32 v0, v7, s10, v0
	v_sub_u32_e32 v11, 0x3f1, v9
	v_or_b32_e32 v7, 0x1000, v0
	v_med3_i32 v11, v11, 0, 13
	v_lshrrev_b32_e32 v12, v11, v7
	v_lshlrev_b32_e32 v11, v11, v12
	v_mul_f16_sdwa v8, v70, v8 dst_sel:DWORD dst_unused:UNUSED_PAD src0_sel:WORD_1 src1_sel:DWORD
	v_cmp_ne_u32_e64 s[0:1], v11, v7
	v_fma_f16 v8, v70, v14, -v8
	v_cndmask_b32_e64 v7, 0, 1, s[0:1]
	v_add_u32_e32 v9, 0xfffffc10, v9
	v_cvt_f32_f16_e32 v8, v8
	v_or_b32_e32 v7, v12, v7
	v_lshl_or_b32 v11, v9, 12, v0
	v_cmp_gt_i32_e64 s[0:1], 1, v9
	v_cndmask_b32_e64 v7, v11, v7, s[0:1]
	v_and_b32_e32 v11, 7, v7
	v_cmp_lt_i32_e64 s[0:1], 5, v11
	v_cmp_eq_u32_e64 s[2:3], 3, v11
	v_lshrrev_b32_e32 v11, 2, v7
	v_cvt_f64_f32_e32 v[7:8], v8
	s_or_b64 s[0:1], s[2:3], s[0:1]
	v_addc_co_u32_e64 v11, s[0:1], 0, v11, s[0:1]
	v_mul_f64 v[7:8], v[7:8], s[12:13]
	v_cmp_gt_i32_e64 s[0:1], 31, v9
	v_cndmask_b32_e64 v11, v2, v11, s[0:1]
	v_cmp_ne_u32_e64 s[0:1], 0, v0
	v_cndmask_b32_e64 v0, 0, 1, s[0:1]
	v_lshl_or_b32 v0, v0, 9, v2
	v_cmp_eq_u32_e64 s[0:1], s11, v9
	v_cndmask_b32_e64 v0, v11, v0, s[0:1]
	v_and_or_b32 v7, v8, s15, v7
	v_lshrrev_b32_e32 v9, 16, v10
	v_cmp_ne_u32_e64 s[0:1], 0, v7
	v_and_or_b32 v0, v9, s14, v0
	v_cndmask_b32_e64 v7, 0, 1, s[0:1]
	v_lshrrev_b32_e32 v9, 8, v8
	v_bfe_u32 v10, v8, 20, 11
	v_and_or_b32 v7, v9, s10, v7
	v_sub_u32_e32 v11, 0x3f1, v10
	v_or_b32_e32 v9, 0x1000, v7
	v_med3_i32 v11, v11, 0, 13
	v_lshrrev_b32_e32 v12, v11, v9
	v_lshlrev_b32_e32 v11, v11, v12
	v_cmp_ne_u32_e64 s[0:1], v11, v9
	v_cndmask_b32_e64 v9, 0, 1, s[0:1]
	v_add_u32_e32 v13, 0xfffffc10, v10
	v_or_b32_e32 v9, v12, v9
	v_lshl_or_b32 v10, v13, 12, v7
	v_cmp_gt_i32_e64 s[0:1], 1, v13
	v_cndmask_b32_e64 v9, v10, v9, s[0:1]
	v_and_b32_e32 v10, 7, v9
	v_cmp_lt_i32_e64 s[0:1], 5, v10
	v_cmp_eq_u32_e64 s[2:3], 3, v10
	v_lshrrev_b32_e32 v11, 2, v9
	ds_read2_b32 v[9:10], v64 offset0:200 offset1:225
	s_or_b64 s[0:1], s[2:3], s[0:1]
	v_addc_co_u32_e64 v11, s[0:1], 0, v11, s[0:1]
	v_cmp_gt_i32_e64 s[0:1], 31, v13
	s_waitcnt lgkmcnt(0)
	v_lshrrev_b32_e32 v15, 16, v9
	v_cndmask_b32_e64 v14, v2, v11, s[0:1]
	v_mul_f16_sdwa v11, v69, v15 dst_sel:DWORD dst_unused:UNUSED_PAD src0_sel:WORD_1 src1_sel:DWORD
	v_fma_f16 v11, v69, v9, v11
	v_cvt_f32_f16_e32 v11, v11
	v_cmp_ne_u32_e64 s[0:1], 0, v7
	v_cndmask_b32_e64 v7, 0, 1, s[0:1]
	v_lshl_or_b32 v7, v7, 9, v2
	v_cvt_f64_f32_e32 v[11:12], v11
	v_cmp_eq_u32_e64 s[0:1], s11, v13
	v_cndmask_b32_e64 v7, v14, v7, s[0:1]
	v_lshrrev_b32_e32 v8, 16, v8
	v_and_or_b32 v13, v8, s14, v7
	v_mul_f64 v[7:8], v[11:12], s[12:13]
	v_and_b32_e32 v0, 0xffff, v0
	v_add_co_u32_e64 v5, s[0:1], s6, v5
	v_lshl_or_b32 v0, v13, 16, v0
	v_addc_co_u32_e64 v6, s[0:1], v6, v1, s[0:1]
	global_store_dword v[5:6], v0, off
	v_and_or_b32 v0, v8, s15, v7
	v_cmp_ne_u32_e64 s[0:1], 0, v0
	v_cndmask_b32_e64 v0, 0, 1, s[0:1]
	v_lshrrev_b32_e32 v7, 8, v8
	v_bfe_u32 v11, v8, 20, 11
	v_and_or_b32 v0, v7, s10, v0
	v_sub_u32_e32 v12, 0x3f1, v11
	v_or_b32_e32 v7, 0x1000, v0
	v_med3_i32 v12, v12, 0, 13
	v_lshrrev_b32_e32 v13, v12, v7
	v_lshlrev_b32_e32 v12, v12, v13
	v_cmp_ne_u32_e64 s[0:1], v12, v7
	v_mul_f16_sdwa v9, v69, v9 dst_sel:DWORD dst_unused:UNUSED_PAD src0_sel:WORD_1 src1_sel:DWORD
	v_cndmask_b32_e64 v7, 0, 1, s[0:1]
	v_fma_f16 v9, v69, v15, -v9
	v_or_b32_e32 v7, v13, v7
	v_add_u32_e32 v13, 0xfffffc10, v11
	v_cvt_f32_f16_e32 v9, v9
	v_lshl_or_b32 v11, v13, 12, v0
	v_cmp_gt_i32_e64 s[0:1], 1, v13
	v_cndmask_b32_e64 v7, v11, v7, s[0:1]
	v_and_b32_e32 v11, 7, v7
	v_cmp_lt_i32_e64 s[0:1], 5, v11
	v_cmp_eq_u32_e64 s[2:3], 3, v11
	v_cvt_f64_f32_e32 v[11:12], v9
	v_lshrrev_b32_e32 v7, 2, v7
	s_or_b64 s[0:1], s[2:3], s[0:1]
	v_addc_co_u32_e64 v7, s[0:1], 0, v7, s[0:1]
	v_mul_f64 v[11:12], v[11:12], s[12:13]
	v_cmp_gt_i32_e64 s[0:1], 31, v13
	v_cndmask_b32_e64 v7, v2, v7, s[0:1]
	v_cmp_ne_u32_e64 s[0:1], 0, v0
	v_cndmask_b32_e64 v0, 0, 1, s[0:1]
	v_lshl_or_b32 v0, v0, 9, v2
	v_cmp_eq_u32_e64 s[0:1], s11, v13
	v_cndmask_b32_e64 v0, v7, v0, s[0:1]
	v_lshrrev_b32_e32 v7, 16, v8
	v_and_or_b32 v0, v7, s14, v0
	v_and_or_b32 v7, v12, s15, v11
	v_cmp_ne_u32_e64 s[0:1], 0, v7
	v_cndmask_b32_e64 v7, 0, 1, s[0:1]
	v_lshrrev_b32_e32 v8, 8, v12
	v_bfe_u32 v9, v12, 20, 11
	v_and_or_b32 v7, v8, s10, v7
	v_sub_u32_e32 v11, 0x3f1, v9
	v_or_b32_e32 v8, 0x1000, v7
	v_med3_i32 v11, v11, 0, 13
	v_lshrrev_b32_e32 v13, v11, v8
	v_lshlrev_b32_e32 v11, v11, v13
	v_cmp_ne_u32_e64 s[0:1], v11, v8
	v_cndmask_b32_e64 v8, 0, 1, s[0:1]
	v_add_u32_e32 v9, 0xfffffc10, v9
	v_or_b32_e32 v8, v13, v8
	v_lshl_or_b32 v11, v9, 12, v7
	v_cmp_gt_i32_e64 s[0:1], 1, v9
	v_cndmask_b32_e64 v8, v11, v8, s[0:1]
	v_and_b32_e32 v11, 7, v8
	v_cmp_lt_i32_e64 s[0:1], 5, v11
	v_cmp_eq_u32_e64 s[2:3], 3, v11
	v_lshrrev_b32_e32 v8, 2, v8
	s_or_b64 s[0:1], s[2:3], s[0:1]
	v_addc_co_u32_e64 v8, s[0:1], 0, v8, s[0:1]
	v_cmp_gt_i32_e64 s[0:1], 31, v9
	v_lshrrev_b32_e32 v13, 16, v10
	v_cndmask_b32_e64 v11, v2, v8, s[0:1]
	v_mul_f16_sdwa v8, v68, v13 dst_sel:DWORD dst_unused:UNUSED_PAD src0_sel:WORD_1 src1_sel:DWORD
	v_fma_f16 v8, v68, v10, v8
	v_cvt_f32_f16_e32 v8, v8
	v_cmp_ne_u32_e64 s[0:1], 0, v7
	v_cndmask_b32_e64 v7, 0, 1, s[0:1]
	v_lshl_or_b32 v14, v7, 9, v2
	v_cvt_f64_f32_e32 v[7:8], v8
	v_cmp_eq_u32_e64 s[0:1], s11, v9
	v_cndmask_b32_e64 v9, v11, v14, s[0:1]
	v_lshrrev_b32_e32 v11, 16, v12
	v_mul_f64 v[7:8], v[7:8], s[12:13]
	v_and_or_b32 v9, v11, s14, v9
	v_and_b32_e32 v0, 0xffff, v0
	v_add_co_u32_e64 v11, s[0:1], s6, v5
	v_lshl_or_b32 v0, v9, 16, v0
	v_addc_co_u32_e64 v12, s[0:1], v6, v1, s[0:1]
	global_store_dword v[11:12], v0, off
	v_and_or_b32 v0, v8, s15, v7
	v_cmp_ne_u32_e64 s[0:1], 0, v0
	v_cndmask_b32_e64 v0, 0, 1, s[0:1]
	v_lshrrev_b32_e32 v5, 8, v8
	v_bfe_u32 v6, v8, 20, 11
	v_and_or_b32 v0, v5, s10, v0
	v_sub_u32_e32 v7, 0x3f1, v6
	v_or_b32_e32 v5, 0x1000, v0
	v_med3_i32 v7, v7, 0, 13
	v_lshrrev_b32_e32 v9, v7, v5
	v_lshlrev_b32_e32 v7, v7, v9
	v_cmp_ne_u32_e64 s[0:1], v7, v5
	v_cndmask_b32_e64 v5, 0, 1, s[0:1]
	v_or_b32_e32 v5, v9, v5
	v_mul_f16_sdwa v9, v68, v10 dst_sel:DWORD dst_unused:UNUSED_PAD src0_sel:WORD_1 src1_sel:DWORD
	v_fma_f16 v9, v68, v13, -v9
	v_add_u32_e32 v7, 0xfffffc10, v6
	v_cvt_f32_f16_e32 v9, v9
	v_lshl_or_b32 v6, v7, 12, v0
	v_cmp_gt_i32_e64 s[0:1], 1, v7
	v_cndmask_b32_e64 v5, v6, v5, s[0:1]
	v_and_b32_e32 v6, 7, v5
	v_cmp_lt_i32_e64 s[0:1], 5, v6
	v_cmp_eq_u32_e64 s[2:3], 3, v6
	v_lshrrev_b32_e32 v10, 2, v5
	v_cvt_f64_f32_e32 v[5:6], v9
	s_or_b64 s[0:1], s[2:3], s[0:1]
	v_addc_co_u32_e64 v9, s[0:1], 0, v10, s[0:1]
	v_mul_f64 v[5:6], v[5:6], s[12:13]
	v_cmp_gt_i32_e64 s[0:1], 31, v7
	v_cndmask_b32_e64 v9, v2, v9, s[0:1]
	v_cmp_ne_u32_e64 s[0:1], 0, v0
	v_cndmask_b32_e64 v0, 0, 1, s[0:1]
	v_lshl_or_b32 v0, v0, 9, v2
	v_cmp_eq_u32_e64 s[0:1], s11, v7
	v_cndmask_b32_e64 v0, v9, v0, s[0:1]
	v_and_or_b32 v5, v6, s15, v5
	v_lshrrev_b32_e32 v7, 16, v8
	v_cmp_ne_u32_e64 s[0:1], 0, v5
	v_and_or_b32 v0, v7, s14, v0
	v_cndmask_b32_e64 v5, 0, 1, s[0:1]
	v_lshrrev_b32_e32 v7, 8, v6
	v_and_or_b32 v9, v7, s10, v5
	v_bfe_u32 v7, v6, 20, 11
	v_sub_u32_e32 v8, 0x3f1, v7
	v_or_b32_e32 v5, 0x1000, v9
	v_med3_i32 v8, v8, 0, 13
	v_lshrrev_b32_e32 v10, v8, v5
	v_lshlrev_b32_e32 v8, v8, v10
	v_cmp_ne_u32_e64 s[0:1], v8, v5
	v_cndmask_b32_e64 v5, 0, 1, s[0:1]
	v_add_u32_e32 v13, 0xfffffc10, v7
	v_or_b32_e32 v5, v10, v5
	v_lshl_or_b32 v7, v13, 12, v9
	v_cmp_gt_i32_e64 s[0:1], 1, v13
	v_cndmask_b32_e64 v5, v7, v5, s[0:1]
	v_and_b32_e32 v7, 7, v5
	v_lshrrev_b32_e32 v10, 2, v5
	v_add_u32_e32 v5, 0x200, v64
	v_cmp_lt_i32_e64 s[0:1], 5, v7
	v_cmp_eq_u32_e64 s[2:3], 3, v7
	ds_read2_b32 v[7:8], v5 offset0:122 offset1:147
	s_or_b64 s[0:1], s[2:3], s[0:1]
	v_addc_co_u32_e64 v10, s[0:1], 0, v10, s[0:1]
	v_cmp_gt_i32_e64 s[0:1], 31, v13
	s_waitcnt lgkmcnt(0)
	v_lshrrev_b32_e32 v15, 16, v7
	v_cndmask_b32_e64 v14, v2, v10, s[0:1]
	v_mul_f16_sdwa v10, v67, v15 dst_sel:DWORD dst_unused:UNUSED_PAD src0_sel:WORD_1 src1_sel:DWORD
	v_fma_f16 v10, v67, v7, v10
	v_cvt_f32_f16_e32 v10, v10
	v_cmp_ne_u32_e64 s[0:1], 0, v9
	v_cndmask_b32_e64 v9, 0, 1, s[0:1]
	v_lshl_or_b32 v16, v9, 9, v2
	v_cvt_f64_f32_e32 v[9:10], v10
	v_cmp_eq_u32_e64 s[0:1], s11, v13
	v_cndmask_b32_e64 v13, v14, v16, s[0:1]
	v_lshrrev_b32_e32 v6, 16, v6
	v_mul_f64 v[9:10], v[9:10], s[12:13]
	v_and_or_b32 v6, v6, s14, v13
	v_and_b32_e32 v0, 0xffff, v0
	v_add_co_u32_e64 v11, s[0:1], s6, v11
	v_lshl_or_b32 v0, v6, 16, v0
	v_addc_co_u32_e64 v12, s[0:1], v12, v1, s[0:1]
	global_store_dword v[11:12], v0, off
	v_and_or_b32 v0, v10, s15, v9
	v_cmp_ne_u32_e64 s[0:1], 0, v0
	v_cndmask_b32_e64 v0, 0, 1, s[0:1]
	v_lshrrev_b32_e32 v6, 8, v10
	v_bfe_u32 v9, v10, 20, 11
	v_and_or_b32 v0, v6, s10, v0
	v_sub_u32_e32 v13, 0x3f1, v9
	v_or_b32_e32 v6, 0x1000, v0
	v_med3_i32 v13, v13, 0, 13
	v_lshrrev_b32_e32 v14, v13, v6
	v_lshlrev_b32_e32 v13, v13, v14
	v_mul_f16_sdwa v7, v67, v7 dst_sel:DWORD dst_unused:UNUSED_PAD src0_sel:WORD_1 src1_sel:DWORD
	v_cmp_ne_u32_e64 s[0:1], v13, v6
	v_fma_f16 v7, v67, v15, -v7
	v_cndmask_b32_e64 v6, 0, 1, s[0:1]
	v_add_u32_e32 v9, 0xfffffc10, v9
	v_cvt_f32_f16_e32 v7, v7
	v_or_b32_e32 v6, v14, v6
	v_lshl_or_b32 v13, v9, 12, v0
	v_cmp_gt_i32_e64 s[0:1], 1, v9
	v_cndmask_b32_e64 v6, v13, v6, s[0:1]
	v_and_b32_e32 v13, 7, v6
	v_cmp_lt_i32_e64 s[0:1], 5, v13
	v_cmp_eq_u32_e64 s[2:3], 3, v13
	v_lshrrev_b32_e32 v13, 2, v6
	v_cvt_f64_f32_e32 v[6:7], v7
	s_or_b64 s[0:1], s[2:3], s[0:1]
	v_addc_co_u32_e64 v13, s[0:1], 0, v13, s[0:1]
	v_mul_f64 v[6:7], v[6:7], s[12:13]
	v_cmp_gt_i32_e64 s[0:1], 31, v9
	v_cndmask_b32_e64 v13, v2, v13, s[0:1]
	v_cmp_ne_u32_e64 s[0:1], 0, v0
	v_cndmask_b32_e64 v0, 0, 1, s[0:1]
	v_lshl_or_b32 v0, v0, 9, v2
	v_cmp_eq_u32_e64 s[0:1], s11, v9
	v_cndmask_b32_e64 v0, v13, v0, s[0:1]
	v_and_or_b32 v6, v7, s15, v6
	v_lshrrev_b32_e32 v9, 16, v10
	v_cmp_ne_u32_e64 s[0:1], 0, v6
	v_and_or_b32 v0, v9, s14, v0
	v_cndmask_b32_e64 v6, 0, 1, s[0:1]
	v_lshrrev_b32_e32 v9, 8, v7
	v_bfe_u32 v10, v7, 20, 11
	v_and_or_b32 v6, v9, s10, v6
	v_sub_u32_e32 v13, 0x3f1, v10
	v_or_b32_e32 v9, 0x1000, v6
	v_med3_i32 v13, v13, 0, 13
	v_lshrrev_b32_e32 v14, v13, v9
	v_lshlrev_b32_e32 v13, v13, v14
	v_cmp_ne_u32_e64 s[0:1], v13, v9
	v_cndmask_b32_e64 v9, 0, 1, s[0:1]
	v_add_u32_e32 v13, 0xfffffc10, v10
	v_or_b32_e32 v9, v14, v9
	v_lshl_or_b32 v10, v13, 12, v6
	v_cmp_gt_i32_e64 s[0:1], 1, v13
	v_cndmask_b32_e64 v9, v10, v9, s[0:1]
	v_and_b32_e32 v10, 7, v9
	v_cmp_lt_i32_e64 s[0:1], 5, v10
	v_cmp_eq_u32_e64 s[2:3], 3, v10
	v_lshrrev_b32_e32 v9, 2, v9
	s_or_b64 s[0:1], s[2:3], s[0:1]
	v_addc_co_u32_e64 v9, s[0:1], 0, v9, s[0:1]
	v_cmp_gt_i32_e64 s[0:1], 31, v13
	v_lshrrev_b32_e32 v15, 16, v8
	v_cndmask_b32_e64 v14, v2, v9, s[0:1]
	v_mul_f16_sdwa v9, v66, v15 dst_sel:DWORD dst_unused:UNUSED_PAD src0_sel:WORD_1 src1_sel:DWORD
	v_fma_f16 v9, v66, v8, v9
	v_cvt_f32_f16_e32 v9, v9
	v_cmp_ne_u32_e64 s[0:1], 0, v6
	v_cndmask_b32_e64 v6, 0, 1, s[0:1]
	v_lshl_or_b32 v6, v6, 9, v2
	v_cvt_f64_f32_e32 v[9:10], v9
	v_cmp_eq_u32_e64 s[0:1], s11, v13
	v_cndmask_b32_e64 v6, v14, v6, s[0:1]
	v_lshrrev_b32_e32 v7, 16, v7
	v_and_or_b32 v13, v7, s14, v6
	v_mul_f64 v[6:7], v[9:10], s[12:13]
	v_and_b32_e32 v0, 0xffff, v0
	v_add_co_u32_e64 v9, s[0:1], s6, v11
	v_lshl_or_b32 v0, v13, 16, v0
	v_addc_co_u32_e64 v10, s[0:1], v12, v1, s[0:1]
	global_store_dword v[9:10], v0, off
	v_and_or_b32 v0, v7, s15, v6
	v_cmp_ne_u32_e64 s[0:1], 0, v0
	v_cndmask_b32_e64 v0, 0, 1, s[0:1]
	v_lshrrev_b32_e32 v6, 8, v7
	v_bfe_u32 v11, v7, 20, 11
	v_and_or_b32 v0, v6, s10, v0
	v_sub_u32_e32 v12, 0x3f1, v11
	v_or_b32_e32 v6, 0x1000, v0
	v_med3_i32 v12, v12, 0, 13
	v_lshrrev_b32_e32 v13, v12, v6
	v_lshlrev_b32_e32 v12, v12, v13
	v_cmp_ne_u32_e64 s[0:1], v12, v6
	v_mul_f16_sdwa v8, v66, v8 dst_sel:DWORD dst_unused:UNUSED_PAD src0_sel:WORD_1 src1_sel:DWORD
	v_cndmask_b32_e64 v6, 0, 1, s[0:1]
	v_fma_f16 v8, v66, v15, -v8
	v_or_b32_e32 v6, v13, v6
	v_add_u32_e32 v13, 0xfffffc10, v11
	v_cvt_f32_f16_e32 v8, v8
	v_lshl_or_b32 v11, v13, 12, v0
	v_cmp_gt_i32_e64 s[0:1], 1, v13
	v_cndmask_b32_e64 v6, v11, v6, s[0:1]
	v_and_b32_e32 v11, 7, v6
	v_cmp_lt_i32_e64 s[0:1], 5, v11
	v_cmp_eq_u32_e64 s[2:3], 3, v11
	v_cvt_f64_f32_e32 v[11:12], v8
	v_lshrrev_b32_e32 v6, 2, v6
	s_or_b64 s[0:1], s[2:3], s[0:1]
	v_addc_co_u32_e64 v6, s[0:1], 0, v6, s[0:1]
	v_mul_f64 v[11:12], v[11:12], s[12:13]
	v_cmp_gt_i32_e64 s[0:1], 31, v13
	v_cndmask_b32_e64 v6, v2, v6, s[0:1]
	v_cmp_ne_u32_e64 s[0:1], 0, v0
	v_cndmask_b32_e64 v0, 0, 1, s[0:1]
	v_lshl_or_b32 v0, v0, 9, v2
	v_cmp_eq_u32_e64 s[0:1], s11, v13
	v_cndmask_b32_e64 v0, v6, v0, s[0:1]
	v_lshrrev_b32_e32 v6, 16, v7
	v_and_or_b32 v0, v6, s14, v0
	v_and_or_b32 v6, v12, s15, v11
	v_cmp_ne_u32_e64 s[0:1], 0, v6
	v_cndmask_b32_e64 v6, 0, 1, s[0:1]
	v_lshrrev_b32_e32 v7, 8, v12
	v_bfe_u32 v8, v12, 20, 11
	v_and_or_b32 v6, v7, s10, v6
	v_sub_u32_e32 v11, 0x3f1, v8
	v_or_b32_e32 v7, 0x1000, v6
	v_med3_i32 v11, v11, 0, 13
	v_lshrrev_b32_e32 v13, v11, v7
	v_lshlrev_b32_e32 v11, v11, v13
	v_cmp_ne_u32_e64 s[0:1], v11, v7
	v_cndmask_b32_e64 v7, 0, 1, s[0:1]
	v_add_u32_e32 v8, 0xfffffc10, v8
	v_or_b32_e32 v7, v13, v7
	v_lshl_or_b32 v11, v8, 12, v6
	v_cmp_gt_i32_e64 s[0:1], 1, v8
	v_cndmask_b32_e64 v7, v11, v7, s[0:1]
	v_and_b32_e32 v11, 7, v7
	v_cmp_lt_i32_e64 s[0:1], 5, v11
	v_cmp_eq_u32_e64 s[2:3], 3, v11
	ds_read_b32 v11, v64 offset:1200
	v_lshrrev_b32_e32 v7, 2, v7
	s_or_b64 s[0:1], s[2:3], s[0:1]
	v_addc_co_u32_e64 v7, s[0:1], 0, v7, s[0:1]
	v_cmp_gt_i32_e64 s[0:1], 31, v8
	s_waitcnt lgkmcnt(0)
	v_lshrrev_b32_e32 v14, 16, v11
	v_cndmask_b32_e64 v13, v2, v7, s[0:1]
	v_mul_f16_sdwa v7, v65, v14 dst_sel:DWORD dst_unused:UNUSED_PAD src0_sel:WORD_1 src1_sel:DWORD
	v_fma_f16 v7, v65, v11, v7
	v_cvt_f32_f16_e32 v7, v7
	v_cmp_ne_u32_e64 s[0:1], 0, v6
	v_cndmask_b32_e64 v6, 0, 1, s[0:1]
	v_lshl_or_b32 v15, v6, 9, v2
	v_cvt_f64_f32_e32 v[6:7], v7
	v_cmp_eq_u32_e64 s[0:1], s11, v8
	v_cndmask_b32_e64 v8, v13, v15, s[0:1]
	v_lshrrev_b32_e32 v12, 16, v12
	v_mul_f64 v[6:7], v[6:7], s[12:13]
	v_and_or_b32 v8, v12, s14, v8
	v_and_b32_e32 v0, 0xffff, v0
	v_lshl_or_b32 v0, v8, 16, v0
	v_add_co_u32_e64 v8, s[0:1], s6, v9
	v_addc_co_u32_e64 v9, s[0:1], v10, v1, s[0:1]
	global_store_dword v[8:9], v0, off
	v_and_or_b32 v0, v7, s15, v6
	v_cmp_ne_u32_e64 s[0:1], 0, v0
	v_cndmask_b32_e64 v0, 0, 1, s[0:1]
	v_lshrrev_b32_e32 v6, 8, v7
	v_bfe_u32 v10, v7, 20, 11
	v_and_or_b32 v0, v6, s10, v0
	v_sub_u32_e32 v12, 0x3f1, v10
	v_or_b32_e32 v6, 0x1000, v0
	v_med3_i32 v12, v12, 0, 13
	v_lshrrev_b32_e32 v13, v12, v6
	v_lshlrev_b32_e32 v12, v12, v13
	v_mul_f16_sdwa v11, v65, v11 dst_sel:DWORD dst_unused:UNUSED_PAD src0_sel:WORD_1 src1_sel:DWORD
	v_cmp_ne_u32_e64 s[0:1], v12, v6
	v_fma_f16 v11, v65, v14, -v11
	v_cndmask_b32_e64 v6, 0, 1, s[0:1]
	v_add_u32_e32 v12, 0xfffffc10, v10
	v_cvt_f32_f16_e32 v11, v11
	v_or_b32_e32 v6, v13, v6
	v_lshl_or_b32 v10, v12, 12, v0
	v_cmp_gt_i32_e64 s[0:1], 1, v12
	v_cndmask_b32_e64 v6, v10, v6, s[0:1]
	v_and_b32_e32 v10, 7, v6
	v_cmp_lt_i32_e64 s[0:1], 5, v10
	v_cmp_eq_u32_e64 s[2:3], 3, v10
	v_cvt_f64_f32_e32 v[10:11], v11
	v_lshrrev_b32_e32 v6, 2, v6
	s_or_b64 s[0:1], s[2:3], s[0:1]
	v_addc_co_u32_e64 v6, s[0:1], 0, v6, s[0:1]
	v_mul_f64 v[10:11], v[10:11], s[12:13]
	v_cmp_gt_i32_e64 s[0:1], 31, v12
	v_cndmask_b32_e64 v6, v2, v6, s[0:1]
	v_cmp_ne_u32_e64 s[0:1], 0, v0
	v_cndmask_b32_e64 v0, 0, 1, s[0:1]
	v_lshl_or_b32 v0, v0, 9, v2
	v_cmp_eq_u32_e64 s[0:1], s11, v12
	v_cndmask_b32_e64 v0, v6, v0, s[0:1]
	v_lshrrev_b32_e32 v6, 16, v7
	v_and_or_b32 v0, v6, s14, v0
	v_and_or_b32 v6, v11, s15, v10
	v_cmp_ne_u32_e64 s[0:1], 0, v6
	v_cndmask_b32_e64 v6, 0, 1, s[0:1]
	v_lshrrev_b32_e32 v7, 8, v11
	v_bfe_u32 v10, v11, 20, 11
	v_and_or_b32 v6, v7, s10, v6
	v_sub_u32_e32 v12, 0x3f1, v10
	v_or_b32_e32 v7, 0x1000, v6
	v_med3_i32 v12, v12, 0, 13
	v_lshrrev_b32_e32 v13, v12, v7
	v_lshlrev_b32_e32 v12, v12, v13
	v_cmp_ne_u32_e64 s[0:1], v12, v7
	v_cndmask_b32_e64 v7, 0, 1, s[0:1]
	v_add_u32_e32 v10, 0xfffffc10, v10
	v_or_b32_e32 v7, v13, v7
	v_lshl_or_b32 v12, v10, 12, v6
	v_cmp_gt_i32_e64 s[0:1], 1, v10
	v_cndmask_b32_e64 v7, v12, v7, s[0:1]
	v_and_b32_e32 v12, 7, v7
	v_cmp_lt_i32_e64 s[0:1], 5, v12
	v_cmp_eq_u32_e64 s[2:3], 3, v12
	v_lshrrev_b32_e32 v7, 2, v7
	s_or_b64 s[0:1], s[2:3], s[0:1]
	v_addc_co_u32_e64 v7, s[0:1], 0, v7, s[0:1]
	v_cmp_gt_i32_e64 s[0:1], 31, v10
	v_cndmask_b32_e64 v7, v2, v7, s[0:1]
	v_cmp_ne_u32_e64 s[0:1], 0, v6
	v_cndmask_b32_e64 v6, 0, 1, s[0:1]
	v_lshl_or_b32 v6, v6, 9, v2
	v_cmp_eq_u32_e64 s[0:1], s11, v10
	v_cndmask_b32_e64 v6, v7, v6, s[0:1]
	v_lshrrev_b32_e32 v7, 16, v11
	v_and_or_b32 v6, v7, s14, v6
	v_and_b32_e32 v0, 0xffff, v0
	v_lshl_or_b32 v6, v6, 16, v0
	v_add_co_u32_e64 v0, s[0:1], s6, v8
	v_addc_co_u32_e64 v1, s[0:1], v9, v1, s[0:1]
	global_store_dword v[0:1], v6, off
	s_and_b64 exec, exec, vcc
	s_cbranch_execz .LBB0_15
; %bb.14:
	global_load_dword v6, v[36:37], off offset:52
	ds_read_b32 v7, v79 offset:52
	v_mov_b32_e32 v10, 0xfffffb84
	v_mad_u64_u32 v[10:11], s[0:1], s8, v10, v[0:1]
	s_mul_i32 s0, s9, 0xfffffb84
	s_waitcnt lgkmcnt(0)
	v_lshrrev_b32_e32 v8, 16, v7
	s_sub_i32 s0, s0, s8
	v_add_u32_e32 v11, s0, v11
	s_waitcnt vmcnt(0)
	v_mul_f16_sdwa v9, v8, v6 dst_sel:DWORD dst_unused:UNUSED_PAD src0_sel:DWORD src1_sel:WORD_1
	v_fma_f16 v9, v7, v6, v9
	v_mul_f16_sdwa v7, v7, v6 dst_sel:DWORD dst_unused:UNUSED_PAD src0_sel:DWORD src1_sel:WORD_1
	v_cvt_f32_f16_e32 v9, v9
	v_fma_f16 v6, v6, v8, -v7
	v_cvt_f32_f16_e32 v8, v6
	v_cvt_f64_f32_e32 v[6:7], v9
	v_cvt_f64_f32_e32 v[8:9], v8
	v_mul_f64 v[6:7], v[6:7], s[12:13]
	v_mul_f64 v[0:1], v[8:9], s[12:13]
	v_and_or_b32 v6, v7, s15, v6
	v_cmp_ne_u32_e32 vcc, 0, v6
	v_and_or_b32 v0, v1, s15, v0
	v_lshrrev_b32_e32 v8, 8, v7
	v_bfe_u32 v9, v7, 20, 11
	v_cndmask_b32_e64 v6, 0, 1, vcc
	v_cmp_ne_u32_e32 vcc, 0, v0
	v_lshrrev_b32_e32 v12, 8, v1
	v_bfe_u32 v13, v1, 20, 11
	v_sub_u32_e32 v14, 0x3f1, v9
	v_cndmask_b32_e64 v0, 0, 1, vcc
	v_and_or_b32 v6, v8, s10, v6
	v_sub_u32_e32 v15, 0x3f1, v13
	v_med3_i32 v8, v14, 0, 13
	v_and_or_b32 v0, v12, s10, v0
	v_or_b32_e32 v14, 0x1000, v6
	v_add_u32_e32 v9, 0xfffffc10, v9
	v_med3_i32 v12, v15, 0, 13
	v_cmp_ne_u32_e32 vcc, 0, v6
	v_or_b32_e32 v16, 0x1000, v0
	v_lshrrev_b32_e32 v18, v8, v14
	v_add_u32_e32 v13, 0xfffffc10, v13
	v_lshl_or_b32 v15, v9, 12, v6
	v_cndmask_b32_e64 v6, 0, 1, vcc
	v_cmp_ne_u32_e32 vcc, 0, v0
	v_lshrrev_b32_e32 v19, v12, v16
	v_lshlrev_b32_e32 v8, v8, v18
	v_lshl_or_b32 v17, v13, 12, v0
	v_cndmask_b32_e64 v0, 0, 1, vcc
	v_lshlrev_b32_e32 v12, v12, v19
	v_cmp_ne_u32_e32 vcc, v8, v14
	v_cndmask_b32_e64 v8, 0, 1, vcc
	v_cmp_ne_u32_e32 vcc, v12, v16
	v_cndmask_b32_e64 v12, 0, 1, vcc
	v_or_b32_e32 v8, v18, v8
	v_cmp_gt_i32_e32 vcc, 1, v9
	v_cndmask_b32_e32 v8, v15, v8, vcc
	v_or_b32_e32 v12, v19, v12
	v_cmp_gt_i32_e32 vcc, 1, v13
	v_and_b32_e32 v14, 7, v8
	v_cndmask_b32_e32 v12, v17, v12, vcc
	v_cmp_lt_i32_e32 vcc, 5, v14
	v_cmp_eq_u32_e64 s[0:1], 3, v14
	v_lshrrev_b32_e32 v8, 2, v8
	v_and_b32_e32 v15, 7, v12
	s_or_b64 vcc, s[0:1], vcc
	v_cmp_lt_i32_e64 s[2:3], 5, v15
	v_cmp_eq_u32_e64 s[4:5], 3, v15
	v_addc_co_u32_e32 v8, vcc, 0, v8, vcc
	v_lshrrev_b32_e32 v12, 2, v12
	s_or_b64 vcc, s[4:5], s[2:3]
	v_addc_co_u32_e32 v12, vcc, 0, v12, vcc
	v_cmp_gt_i32_e32 vcc, 31, v9
	v_cndmask_b32_e32 v8, v2, v8, vcc
	v_cmp_gt_i32_e32 vcc, 31, v13
	v_lshl_or_b32 v6, v6, 9, v2
	v_cndmask_b32_e32 v12, v2, v12, vcc
	v_cmp_eq_u32_e32 vcc, s11, v9
	v_lshrrev_b32_e32 v7, 16, v7
	v_lshl_or_b32 v0, v0, 9, v2
	v_cndmask_b32_e32 v6, v8, v6, vcc
	v_cmp_eq_u32_e32 vcc, s11, v13
	v_lshrrev_b32_e32 v1, 16, v1
	v_cndmask_b32_e32 v0, v12, v0, vcc
	v_and_or_b32 v6, v7, s14, v6
	v_and_or_b32 v0, v1, s14, v0
	v_and_b32_e32 v1, 0xffff, v6
	v_lshl_or_b32 v0, v0, 16, v1
	global_store_dword v[10:11], v0, off
	global_load_dword v6, v[36:37], off offset:152
	ds_read2_b32 v[0:1], v64 offset0:38 offset1:63
	v_add_co_u32_e32 v10, vcc, s6, v10
	s_waitcnt lgkmcnt(0)
	v_lshrrev_b32_e32 v7, 16, v0
	s_waitcnt vmcnt(0)
	v_mul_f16_sdwa v8, v7, v6 dst_sel:DWORD dst_unused:UNUSED_PAD src0_sel:DWORD src1_sel:WORD_1
	v_fma_f16 v8, v0, v6, v8
	v_mul_f16_sdwa v0, v0, v6 dst_sel:DWORD dst_unused:UNUSED_PAD src0_sel:DWORD src1_sel:WORD_1
	v_cvt_f32_f16_e32 v8, v8
	v_fma_f16 v0, v6, v7, -v0
	v_cvt_f32_f16_e32 v0, v0
	v_cvt_f64_f32_e32 v[6:7], v8
	v_cvt_f64_f32_e32 v[8:9], v0
	v_mov_b32_e32 v0, s7
	v_mul_f64 v[6:7], v[6:7], s[12:13]
	v_addc_co_u32_e32 v11, vcc, v11, v0, vcc
	v_mul_f64 v[8:9], v[8:9], s[12:13]
	v_and_or_b32 v6, v7, s15, v6
	v_cmp_ne_u32_e32 vcc, 0, v6
	v_lshrrev_b32_e32 v12, 8, v7
	v_and_or_b32 v8, v9, s15, v8
	v_bfe_u32 v13, v7, 20, 11
	v_cndmask_b32_e64 v6, 0, 1, vcc
	v_cmp_ne_u32_e32 vcc, 0, v8
	v_lshrrev_b32_e32 v14, 8, v9
	v_bfe_u32 v15, v9, 20, 11
	v_sub_u32_e32 v16, 0x3f1, v13
	v_cndmask_b32_e64 v8, 0, 1, vcc
	v_and_or_b32 v6, v12, s10, v6
	v_sub_u32_e32 v17, 0x3f1, v15
	v_med3_i32 v12, v16, 0, 13
	v_and_or_b32 v8, v14, s10, v8
	v_or_b32_e32 v16, 0x1000, v6
	v_add_u32_e32 v13, 0xfffffc10, v13
	v_med3_i32 v14, v17, 0, 13
	v_cmp_ne_u32_e32 vcc, 0, v6
	v_or_b32_e32 v18, 0x1000, v8
	v_lshrrev_b32_e32 v20, v12, v16
	v_add_u32_e32 v15, 0xfffffc10, v15
	v_lshl_or_b32 v17, v13, 12, v6
	v_cndmask_b32_e64 v6, 0, 1, vcc
	v_cmp_ne_u32_e32 vcc, 0, v8
	v_lshrrev_b32_e32 v21, v14, v18
	v_lshlrev_b32_e32 v12, v12, v20
	v_lshl_or_b32 v19, v15, 12, v8
	v_cndmask_b32_e64 v8, 0, 1, vcc
	v_lshlrev_b32_e32 v14, v14, v21
	v_cmp_ne_u32_e32 vcc, v12, v16
	v_cndmask_b32_e64 v12, 0, 1, vcc
	v_cmp_ne_u32_e32 vcc, v14, v18
	v_cndmask_b32_e64 v14, 0, 1, vcc
	v_or_b32_e32 v12, v20, v12
	v_cmp_gt_i32_e32 vcc, 1, v13
	v_cndmask_b32_e32 v12, v17, v12, vcc
	v_or_b32_e32 v14, v21, v14
	v_cmp_gt_i32_e32 vcc, 1, v15
	v_and_b32_e32 v16, 7, v12
	v_cndmask_b32_e32 v14, v19, v14, vcc
	v_cmp_lt_i32_e32 vcc, 5, v16
	v_cmp_eq_u32_e64 s[0:1], 3, v16
	v_lshrrev_b32_e32 v12, 2, v12
	v_and_b32_e32 v17, 7, v14
	s_or_b64 vcc, s[0:1], vcc
	v_cmp_lt_i32_e64 s[2:3], 5, v17
	v_cmp_eq_u32_e64 s[4:5], 3, v17
	v_addc_co_u32_e32 v12, vcc, 0, v12, vcc
	v_lshrrev_b32_e32 v14, 2, v14
	s_or_b64 vcc, s[4:5], s[2:3]
	v_addc_co_u32_e32 v14, vcc, 0, v14, vcc
	v_cmp_gt_i32_e32 vcc, 31, v13
	v_cndmask_b32_e32 v12, v2, v12, vcc
	v_cmp_gt_i32_e32 vcc, 31, v15
	v_lshl_or_b32 v6, v6, 9, v2
	v_cndmask_b32_e32 v14, v2, v14, vcc
	v_cmp_eq_u32_e32 vcc, s11, v13
	v_lshrrev_b32_e32 v7, 16, v7
	v_lshl_or_b32 v8, v8, 9, v2
	v_cndmask_b32_e32 v6, v12, v6, vcc
	v_cmp_eq_u32_e32 vcc, s11, v15
	v_lshrrev_b32_e32 v9, 16, v9
	v_cndmask_b32_e32 v8, v14, v8, vcc
	v_and_or_b32 v6, v7, s14, v6
	v_and_or_b32 v7, v9, s14, v8
	v_and_b32_e32 v6, 0xffff, v6
	v_lshl_or_b32 v6, v7, 16, v6
	global_store_dword v[10:11], v6, off
	global_load_dword v6, v[36:37], off offset:252
	v_lshrrev_b32_e32 v7, 16, v1
	v_add_co_u32_e32 v10, vcc, s6, v10
	v_addc_co_u32_e32 v11, vcc, v11, v0, vcc
	s_waitcnt vmcnt(0)
	v_mul_f16_sdwa v8, v7, v6 dst_sel:DWORD dst_unused:UNUSED_PAD src0_sel:DWORD src1_sel:WORD_1
	v_fma_f16 v8, v1, v6, v8
	v_mul_f16_sdwa v1, v1, v6 dst_sel:DWORD dst_unused:UNUSED_PAD src0_sel:DWORD src1_sel:WORD_1
	v_cvt_f32_f16_e32 v8, v8
	v_fma_f16 v1, v6, v7, -v1
	v_cvt_f32_f16_e32 v1, v1
	v_cvt_f64_f32_e32 v[6:7], v8
	v_cvt_f64_f32_e32 v[8:9], v1
	v_mul_f64 v[6:7], v[6:7], s[12:13]
	v_mul_f64 v[8:9], v[8:9], s[12:13]
	v_and_or_b32 v1, v7, s15, v6
	v_cmp_ne_u32_e32 vcc, 0, v1
	v_and_or_b32 v8, v9, s15, v8
	v_lshrrev_b32_e32 v6, 8, v7
	v_bfe_u32 v12, v7, 20, 11
	v_cndmask_b32_e64 v1, 0, 1, vcc
	v_cmp_ne_u32_e32 vcc, 0, v8
	v_lshrrev_b32_e32 v13, 8, v9
	v_bfe_u32 v14, v9, 20, 11
	v_sub_u32_e32 v15, 0x3f1, v12
	v_cndmask_b32_e64 v8, 0, 1, vcc
	v_and_or_b32 v1, v6, s10, v1
	v_sub_u32_e32 v16, 0x3f1, v14
	v_med3_i32 v6, v15, 0, 13
	v_and_or_b32 v8, v13, s10, v8
	v_or_b32_e32 v15, 0x1000, v1
	v_add_u32_e32 v12, 0xfffffc10, v12
	v_med3_i32 v13, v16, 0, 13
	v_cmp_ne_u32_e32 vcc, 0, v1
	v_or_b32_e32 v17, 0x1000, v8
	v_lshrrev_b32_e32 v19, v6, v15
	v_add_u32_e32 v14, 0xfffffc10, v14
	v_lshl_or_b32 v16, v12, 12, v1
	v_cndmask_b32_e64 v1, 0, 1, vcc
	v_cmp_ne_u32_e32 vcc, 0, v8
	v_lshrrev_b32_e32 v20, v13, v17
	v_lshlrev_b32_e32 v6, v6, v19
	v_lshl_or_b32 v18, v14, 12, v8
	v_cndmask_b32_e64 v8, 0, 1, vcc
	v_lshlrev_b32_e32 v13, v13, v20
	v_cmp_ne_u32_e32 vcc, v6, v15
	v_cndmask_b32_e64 v6, 0, 1, vcc
	v_cmp_ne_u32_e32 vcc, v13, v17
	v_cndmask_b32_e64 v13, 0, 1, vcc
	v_or_b32_e32 v6, v19, v6
	v_cmp_gt_i32_e32 vcc, 1, v12
	v_cndmask_b32_e32 v6, v16, v6, vcc
	v_or_b32_e32 v13, v20, v13
	v_cmp_gt_i32_e32 vcc, 1, v14
	v_and_b32_e32 v15, 7, v6
	v_cndmask_b32_e32 v13, v18, v13, vcc
	v_cmp_lt_i32_e32 vcc, 5, v15
	v_cmp_eq_u32_e64 s[0:1], 3, v15
	v_lshrrev_b32_e32 v6, 2, v6
	v_and_b32_e32 v16, 7, v13
	s_or_b64 vcc, s[0:1], vcc
	v_cmp_lt_i32_e64 s[2:3], 5, v16
	v_cmp_eq_u32_e64 s[4:5], 3, v16
	v_addc_co_u32_e32 v6, vcc, 0, v6, vcc
	v_lshrrev_b32_e32 v13, 2, v13
	s_or_b64 vcc, s[4:5], s[2:3]
	v_addc_co_u32_e32 v13, vcc, 0, v13, vcc
	v_cmp_gt_i32_e32 vcc, 31, v12
	v_cndmask_b32_e32 v6, v2, v6, vcc
	v_cmp_gt_i32_e32 vcc, 31, v14
	v_lshl_or_b32 v1, v1, 9, v2
	v_cndmask_b32_e32 v13, v2, v13, vcc
	v_cmp_eq_u32_e32 vcc, s11, v12
	v_lshrrev_b32_e32 v7, 16, v7
	v_lshl_or_b32 v8, v8, 9, v2
	v_cndmask_b32_e32 v1, v6, v1, vcc
	v_cmp_eq_u32_e32 vcc, s11, v14
	v_lshrrev_b32_e32 v9, 16, v9
	v_cndmask_b32_e32 v6, v13, v8, vcc
	v_and_or_b32 v1, v7, s14, v1
	v_and_or_b32 v6, v9, s14, v6
	v_and_b32_e32 v1, 0xffff, v1
	v_lshl_or_b32 v1, v6, 16, v1
	global_store_dword v[10:11], v1, off
	global_load_dword v1, v[36:37], off offset:352
	ds_read2_b32 v[6:7], v64 offset0:88 offset1:113
	v_add_co_u32_e32 v10, vcc, s6, v10
	v_addc_co_u32_e32 v11, vcc, v11, v0, vcc
	s_waitcnt lgkmcnt(0)
	v_lshrrev_b32_e32 v8, 16, v6
	s_waitcnt vmcnt(0)
	v_mul_f16_sdwa v9, v8, v1 dst_sel:DWORD dst_unused:UNUSED_PAD src0_sel:DWORD src1_sel:WORD_1
	v_fma_f16 v9, v6, v1, v9
	v_mul_f16_sdwa v6, v6, v1 dst_sel:DWORD dst_unused:UNUSED_PAD src0_sel:DWORD src1_sel:WORD_1
	v_cvt_f32_f16_e32 v9, v9
	v_fma_f16 v1, v1, v8, -v6
	v_cvt_f32_f16_e32 v1, v1
	v_cvt_f64_f32_e32 v[8:9], v9
	v_cvt_f64_f32_e32 v[12:13], v1
	v_mul_f64 v[8:9], v[8:9], s[12:13]
	v_mul_f64 v[12:13], v[12:13], s[12:13]
	v_and_or_b32 v1, v9, s15, v8
	v_cmp_ne_u32_e32 vcc, 0, v1
	v_and_or_b32 v12, v13, s15, v12
	v_lshrrev_b32_e32 v6, 8, v9
	v_bfe_u32 v8, v9, 20, 11
	v_cndmask_b32_e64 v1, 0, 1, vcc
	v_cmp_ne_u32_e32 vcc, 0, v12
	v_lshrrev_b32_e32 v14, 8, v13
	v_bfe_u32 v15, v13, 20, 11
	v_sub_u32_e32 v16, 0x3f1, v8
	v_cndmask_b32_e64 v12, 0, 1, vcc
	v_and_or_b32 v1, v6, s10, v1
	v_sub_u32_e32 v17, 0x3f1, v15
	v_med3_i32 v6, v16, 0, 13
	v_and_or_b32 v12, v14, s10, v12
	v_or_b32_e32 v16, 0x1000, v1
	v_add_u32_e32 v8, 0xfffffc10, v8
	v_med3_i32 v14, v17, 0, 13
	v_cmp_ne_u32_e32 vcc, 0, v1
	v_or_b32_e32 v18, 0x1000, v12
	v_lshrrev_b32_e32 v20, v6, v16
	v_add_u32_e32 v15, 0xfffffc10, v15
	v_lshl_or_b32 v17, v8, 12, v1
	v_cndmask_b32_e64 v1, 0, 1, vcc
	v_cmp_ne_u32_e32 vcc, 0, v12
	v_lshrrev_b32_e32 v21, v14, v18
	v_lshlrev_b32_e32 v6, v6, v20
	v_lshl_or_b32 v19, v15, 12, v12
	v_cndmask_b32_e64 v12, 0, 1, vcc
	v_lshlrev_b32_e32 v14, v14, v21
	v_cmp_ne_u32_e32 vcc, v6, v16
	v_cndmask_b32_e64 v6, 0, 1, vcc
	v_cmp_ne_u32_e32 vcc, v14, v18
	v_cndmask_b32_e64 v14, 0, 1, vcc
	v_or_b32_e32 v6, v20, v6
	v_cmp_gt_i32_e32 vcc, 1, v8
	v_cndmask_b32_e32 v6, v17, v6, vcc
	v_or_b32_e32 v14, v21, v14
	v_cmp_gt_i32_e32 vcc, 1, v15
	v_and_b32_e32 v16, 7, v6
	v_cndmask_b32_e32 v14, v19, v14, vcc
	v_cmp_lt_i32_e32 vcc, 5, v16
	v_cmp_eq_u32_e64 s[0:1], 3, v16
	v_lshrrev_b32_e32 v6, 2, v6
	v_and_b32_e32 v17, 7, v14
	s_or_b64 vcc, s[0:1], vcc
	v_cmp_lt_i32_e64 s[2:3], 5, v17
	v_cmp_eq_u32_e64 s[4:5], 3, v17
	v_addc_co_u32_e32 v6, vcc, 0, v6, vcc
	v_lshrrev_b32_e32 v14, 2, v14
	s_or_b64 vcc, s[4:5], s[2:3]
	v_addc_co_u32_e32 v14, vcc, 0, v14, vcc
	v_cmp_gt_i32_e32 vcc, 31, v8
	v_cndmask_b32_e32 v6, v2, v6, vcc
	v_cmp_gt_i32_e32 vcc, 31, v15
	v_lshl_or_b32 v1, v1, 9, v2
	v_cndmask_b32_e32 v14, v2, v14, vcc
	v_cmp_eq_u32_e32 vcc, s11, v8
	v_lshrrev_b32_e32 v9, 16, v9
	v_lshl_or_b32 v12, v12, 9, v2
	v_cndmask_b32_e32 v1, v6, v1, vcc
	v_cmp_eq_u32_e32 vcc, s11, v15
	v_lshrrev_b32_e32 v13, 16, v13
	v_cndmask_b32_e32 v6, v14, v12, vcc
	v_and_or_b32 v1, v9, s14, v1
	v_and_or_b32 v6, v13, s14, v6
	v_and_b32_e32 v1, 0xffff, v1
	v_lshl_or_b32 v1, v6, 16, v1
	global_store_dword v[10:11], v1, off
	global_load_dword v1, v[36:37], off offset:452
	v_lshrrev_b32_e32 v6, 16, v7
	v_add_co_u32_e32 v10, vcc, s6, v10
	v_addc_co_u32_e32 v11, vcc, v11, v0, vcc
	s_waitcnt vmcnt(0)
	v_mul_f16_sdwa v8, v6, v1 dst_sel:DWORD dst_unused:UNUSED_PAD src0_sel:DWORD src1_sel:WORD_1
	v_fma_f16 v8, v7, v1, v8
	v_mul_f16_sdwa v7, v7, v1 dst_sel:DWORD dst_unused:UNUSED_PAD src0_sel:DWORD src1_sel:WORD_1
	v_cvt_f32_f16_e32 v8, v8
	v_fma_f16 v1, v1, v6, -v7
	v_cvt_f32_f16_e32 v1, v1
	v_cvt_f64_f32_e32 v[6:7], v8
	v_cvt_f64_f32_e32 v[8:9], v1
	v_mul_f64 v[6:7], v[6:7], s[12:13]
	v_mul_f64 v[8:9], v[8:9], s[12:13]
	v_and_or_b32 v1, v7, s15, v6
	v_cmp_ne_u32_e32 vcc, 0, v1
	v_and_or_b32 v8, v9, s15, v8
	v_lshrrev_b32_e32 v6, 8, v7
	v_bfe_u32 v12, v7, 20, 11
	v_cndmask_b32_e64 v1, 0, 1, vcc
	v_cmp_ne_u32_e32 vcc, 0, v8
	v_lshrrev_b32_e32 v13, 8, v9
	v_bfe_u32 v14, v9, 20, 11
	v_sub_u32_e32 v15, 0x3f1, v12
	v_cndmask_b32_e64 v8, 0, 1, vcc
	v_and_or_b32 v1, v6, s10, v1
	v_sub_u32_e32 v16, 0x3f1, v14
	v_med3_i32 v6, v15, 0, 13
	v_and_or_b32 v8, v13, s10, v8
	v_or_b32_e32 v15, 0x1000, v1
	v_add_u32_e32 v12, 0xfffffc10, v12
	v_med3_i32 v13, v16, 0, 13
	v_cmp_ne_u32_e32 vcc, 0, v1
	v_or_b32_e32 v17, 0x1000, v8
	v_lshrrev_b32_e32 v19, v6, v15
	v_add_u32_e32 v14, 0xfffffc10, v14
	v_lshl_or_b32 v16, v12, 12, v1
	v_cndmask_b32_e64 v1, 0, 1, vcc
	v_cmp_ne_u32_e32 vcc, 0, v8
	v_lshrrev_b32_e32 v20, v13, v17
	v_lshlrev_b32_e32 v6, v6, v19
	v_lshl_or_b32 v18, v14, 12, v8
	v_cndmask_b32_e64 v8, 0, 1, vcc
	v_lshlrev_b32_e32 v13, v13, v20
	v_cmp_ne_u32_e32 vcc, v6, v15
	v_cndmask_b32_e64 v6, 0, 1, vcc
	v_cmp_ne_u32_e32 vcc, v13, v17
	v_cndmask_b32_e64 v13, 0, 1, vcc
	v_or_b32_e32 v6, v19, v6
	v_cmp_gt_i32_e32 vcc, 1, v12
	v_cndmask_b32_e32 v6, v16, v6, vcc
	v_or_b32_e32 v13, v20, v13
	v_cmp_gt_i32_e32 vcc, 1, v14
	v_and_b32_e32 v15, 7, v6
	v_cndmask_b32_e32 v13, v18, v13, vcc
	v_cmp_lt_i32_e32 vcc, 5, v15
	v_cmp_eq_u32_e64 s[0:1], 3, v15
	v_lshrrev_b32_e32 v6, 2, v6
	v_and_b32_e32 v16, 7, v13
	s_or_b64 vcc, s[0:1], vcc
	v_cmp_lt_i32_e64 s[2:3], 5, v16
	v_cmp_eq_u32_e64 s[4:5], 3, v16
	v_addc_co_u32_e32 v6, vcc, 0, v6, vcc
	v_lshrrev_b32_e32 v13, 2, v13
	s_or_b64 vcc, s[4:5], s[2:3]
	v_addc_co_u32_e32 v13, vcc, 0, v13, vcc
	v_cmp_gt_i32_e32 vcc, 31, v12
	v_cndmask_b32_e32 v6, v2, v6, vcc
	v_cmp_gt_i32_e32 vcc, 31, v14
	v_lshl_or_b32 v1, v1, 9, v2
	v_cndmask_b32_e32 v13, v2, v13, vcc
	v_cmp_eq_u32_e32 vcc, s11, v12
	v_lshrrev_b32_e32 v7, 16, v7
	v_lshl_or_b32 v8, v8, 9, v2
	v_cndmask_b32_e32 v1, v6, v1, vcc
	v_cmp_eq_u32_e32 vcc, s11, v14
	v_lshrrev_b32_e32 v9, 16, v9
	v_cndmask_b32_e32 v6, v13, v8, vcc
	v_and_or_b32 v1, v7, s14, v1
	v_and_or_b32 v6, v9, s14, v6
	v_and_b32_e32 v1, 0xffff, v1
	v_lshl_or_b32 v1, v6, 16, v1
	global_store_dword v[10:11], v1, off
	global_load_dword v1, v[36:37], off offset:552
	ds_read2_b32 v[6:7], v64 offset0:138 offset1:163
	v_add_co_u32_e32 v10, vcc, s6, v10
	v_addc_co_u32_e32 v11, vcc, v11, v0, vcc
	s_waitcnt lgkmcnt(0)
	v_lshrrev_b32_e32 v8, 16, v6
	s_waitcnt vmcnt(0)
	v_mul_f16_sdwa v9, v8, v1 dst_sel:DWORD dst_unused:UNUSED_PAD src0_sel:DWORD src1_sel:WORD_1
	v_fma_f16 v9, v6, v1, v9
	v_mul_f16_sdwa v6, v6, v1 dst_sel:DWORD dst_unused:UNUSED_PAD src0_sel:DWORD src1_sel:WORD_1
	v_cvt_f32_f16_e32 v9, v9
	v_fma_f16 v1, v1, v8, -v6
	v_cvt_f32_f16_e32 v1, v1
	v_cvt_f64_f32_e32 v[8:9], v9
	v_cvt_f64_f32_e32 v[12:13], v1
	v_mul_f64 v[8:9], v[8:9], s[12:13]
	v_mul_f64 v[12:13], v[12:13], s[12:13]
	v_and_or_b32 v1, v9, s15, v8
	v_cmp_ne_u32_e32 vcc, 0, v1
	v_and_or_b32 v12, v13, s15, v12
	v_lshrrev_b32_e32 v6, 8, v9
	v_bfe_u32 v8, v9, 20, 11
	v_cndmask_b32_e64 v1, 0, 1, vcc
	v_cmp_ne_u32_e32 vcc, 0, v12
	v_lshrrev_b32_e32 v14, 8, v13
	v_bfe_u32 v15, v13, 20, 11
	v_sub_u32_e32 v16, 0x3f1, v8
	v_cndmask_b32_e64 v12, 0, 1, vcc
	v_and_or_b32 v1, v6, s10, v1
	v_sub_u32_e32 v17, 0x3f1, v15
	v_med3_i32 v6, v16, 0, 13
	v_and_or_b32 v12, v14, s10, v12
	v_or_b32_e32 v16, 0x1000, v1
	v_add_u32_e32 v8, 0xfffffc10, v8
	v_med3_i32 v14, v17, 0, 13
	v_cmp_ne_u32_e32 vcc, 0, v1
	v_or_b32_e32 v18, 0x1000, v12
	v_lshrrev_b32_e32 v20, v6, v16
	v_add_u32_e32 v15, 0xfffffc10, v15
	v_lshl_or_b32 v17, v8, 12, v1
	v_cndmask_b32_e64 v1, 0, 1, vcc
	v_cmp_ne_u32_e32 vcc, 0, v12
	v_lshrrev_b32_e32 v21, v14, v18
	v_lshlrev_b32_e32 v6, v6, v20
	v_lshl_or_b32 v19, v15, 12, v12
	v_cndmask_b32_e64 v12, 0, 1, vcc
	v_lshlrev_b32_e32 v14, v14, v21
	v_cmp_ne_u32_e32 vcc, v6, v16
	v_cndmask_b32_e64 v6, 0, 1, vcc
	v_cmp_ne_u32_e32 vcc, v14, v18
	v_cndmask_b32_e64 v14, 0, 1, vcc
	v_or_b32_e32 v6, v20, v6
	v_cmp_gt_i32_e32 vcc, 1, v8
	v_cndmask_b32_e32 v6, v17, v6, vcc
	v_or_b32_e32 v14, v21, v14
	v_cmp_gt_i32_e32 vcc, 1, v15
	v_and_b32_e32 v16, 7, v6
	v_cndmask_b32_e32 v14, v19, v14, vcc
	v_cmp_lt_i32_e32 vcc, 5, v16
	v_cmp_eq_u32_e64 s[0:1], 3, v16
	v_lshrrev_b32_e32 v6, 2, v6
	v_and_b32_e32 v17, 7, v14
	s_or_b64 vcc, s[0:1], vcc
	v_cmp_lt_i32_e64 s[2:3], 5, v17
	v_cmp_eq_u32_e64 s[4:5], 3, v17
	v_addc_co_u32_e32 v6, vcc, 0, v6, vcc
	v_lshrrev_b32_e32 v14, 2, v14
	s_or_b64 vcc, s[4:5], s[2:3]
	v_addc_co_u32_e32 v14, vcc, 0, v14, vcc
	v_cmp_gt_i32_e32 vcc, 31, v8
	v_cndmask_b32_e32 v6, v2, v6, vcc
	v_cmp_gt_i32_e32 vcc, 31, v15
	v_lshl_or_b32 v1, v1, 9, v2
	v_cndmask_b32_e32 v14, v2, v14, vcc
	v_cmp_eq_u32_e32 vcc, s11, v8
	v_lshrrev_b32_e32 v9, 16, v9
	v_lshl_or_b32 v12, v12, 9, v2
	v_cndmask_b32_e32 v1, v6, v1, vcc
	v_cmp_eq_u32_e32 vcc, s11, v15
	v_lshrrev_b32_e32 v13, 16, v13
	v_cndmask_b32_e32 v6, v14, v12, vcc
	v_and_or_b32 v1, v9, s14, v1
	v_and_or_b32 v6, v13, s14, v6
	v_and_b32_e32 v1, 0xffff, v1
	v_lshl_or_b32 v1, v6, 16, v1
	global_store_dword v[10:11], v1, off
	global_load_dword v1, v[36:37], off offset:652
	v_lshrrev_b32_e32 v6, 16, v7
	v_add_co_u32_e32 v10, vcc, s6, v10
	v_addc_co_u32_e32 v11, vcc, v11, v0, vcc
	s_waitcnt vmcnt(0)
	v_mul_f16_sdwa v8, v6, v1 dst_sel:DWORD dst_unused:UNUSED_PAD src0_sel:DWORD src1_sel:WORD_1
	v_fma_f16 v8, v7, v1, v8
	v_mul_f16_sdwa v7, v7, v1 dst_sel:DWORD dst_unused:UNUSED_PAD src0_sel:DWORD src1_sel:WORD_1
	v_cvt_f32_f16_e32 v8, v8
	v_fma_f16 v1, v1, v6, -v7
	v_cvt_f32_f16_e32 v1, v1
	v_cvt_f64_f32_e32 v[6:7], v8
	v_cvt_f64_f32_e32 v[8:9], v1
	v_mul_f64 v[6:7], v[6:7], s[12:13]
	v_mul_f64 v[8:9], v[8:9], s[12:13]
	v_and_or_b32 v1, v7, s15, v6
	v_cmp_ne_u32_e32 vcc, 0, v1
	v_and_or_b32 v8, v9, s15, v8
	v_lshrrev_b32_e32 v6, 8, v7
	v_bfe_u32 v12, v7, 20, 11
	v_cndmask_b32_e64 v1, 0, 1, vcc
	v_cmp_ne_u32_e32 vcc, 0, v8
	v_lshrrev_b32_e32 v13, 8, v9
	v_bfe_u32 v14, v9, 20, 11
	v_sub_u32_e32 v15, 0x3f1, v12
	v_cndmask_b32_e64 v8, 0, 1, vcc
	v_and_or_b32 v1, v6, s10, v1
	v_sub_u32_e32 v16, 0x3f1, v14
	v_med3_i32 v6, v15, 0, 13
	v_and_or_b32 v8, v13, s10, v8
	v_or_b32_e32 v15, 0x1000, v1
	v_add_u32_e32 v12, 0xfffffc10, v12
	v_med3_i32 v13, v16, 0, 13
	v_cmp_ne_u32_e32 vcc, 0, v1
	v_or_b32_e32 v17, 0x1000, v8
	v_lshrrev_b32_e32 v19, v6, v15
	v_add_u32_e32 v14, 0xfffffc10, v14
	v_lshl_or_b32 v16, v12, 12, v1
	v_cndmask_b32_e64 v1, 0, 1, vcc
	v_cmp_ne_u32_e32 vcc, 0, v8
	v_lshrrev_b32_e32 v20, v13, v17
	v_lshlrev_b32_e32 v6, v6, v19
	v_lshl_or_b32 v18, v14, 12, v8
	v_cndmask_b32_e64 v8, 0, 1, vcc
	v_lshlrev_b32_e32 v13, v13, v20
	v_cmp_ne_u32_e32 vcc, v6, v15
	v_cndmask_b32_e64 v6, 0, 1, vcc
	v_cmp_ne_u32_e32 vcc, v13, v17
	v_cndmask_b32_e64 v13, 0, 1, vcc
	v_or_b32_e32 v6, v19, v6
	v_cmp_gt_i32_e32 vcc, 1, v12
	v_cndmask_b32_e32 v6, v16, v6, vcc
	v_or_b32_e32 v13, v20, v13
	v_cmp_gt_i32_e32 vcc, 1, v14
	v_and_b32_e32 v15, 7, v6
	v_cndmask_b32_e32 v13, v18, v13, vcc
	v_cmp_lt_i32_e32 vcc, 5, v15
	v_cmp_eq_u32_e64 s[0:1], 3, v15
	v_lshrrev_b32_e32 v6, 2, v6
	v_and_b32_e32 v16, 7, v13
	s_or_b64 vcc, s[0:1], vcc
	v_cmp_lt_i32_e64 s[2:3], 5, v16
	v_cmp_eq_u32_e64 s[4:5], 3, v16
	v_addc_co_u32_e32 v6, vcc, 0, v6, vcc
	v_lshrrev_b32_e32 v13, 2, v13
	s_or_b64 vcc, s[4:5], s[2:3]
	v_addc_co_u32_e32 v13, vcc, 0, v13, vcc
	v_cmp_gt_i32_e32 vcc, 31, v12
	v_cndmask_b32_e32 v6, v2, v6, vcc
	v_cmp_gt_i32_e32 vcc, 31, v14
	v_lshl_or_b32 v1, v1, 9, v2
	v_cndmask_b32_e32 v13, v2, v13, vcc
	v_cmp_eq_u32_e32 vcc, s11, v12
	v_lshrrev_b32_e32 v7, 16, v7
	v_lshl_or_b32 v8, v8, 9, v2
	v_cndmask_b32_e32 v1, v6, v1, vcc
	v_cmp_eq_u32_e32 vcc, s11, v14
	v_lshrrev_b32_e32 v9, 16, v9
	v_cndmask_b32_e32 v6, v13, v8, vcc
	v_and_or_b32 v1, v7, s14, v1
	v_and_or_b32 v6, v9, s14, v6
	v_and_b32_e32 v1, 0xffff, v1
	v_lshl_or_b32 v1, v6, 16, v1
	global_store_dword v[10:11], v1, off
	global_load_dword v1, v[36:37], off offset:752
	ds_read2_b32 v[6:7], v64 offset0:188 offset1:213
	v_add_co_u32_e32 v10, vcc, s6, v10
	v_addc_co_u32_e32 v11, vcc, v11, v0, vcc
	s_waitcnt lgkmcnt(0)
	v_lshrrev_b32_e32 v8, 16, v6
	s_waitcnt vmcnt(0)
	v_mul_f16_sdwa v9, v8, v1 dst_sel:DWORD dst_unused:UNUSED_PAD src0_sel:DWORD src1_sel:WORD_1
	v_fma_f16 v9, v6, v1, v9
	v_mul_f16_sdwa v6, v6, v1 dst_sel:DWORD dst_unused:UNUSED_PAD src0_sel:DWORD src1_sel:WORD_1
	v_cvt_f32_f16_e32 v9, v9
	v_fma_f16 v1, v1, v8, -v6
	v_cvt_f32_f16_e32 v1, v1
	v_cvt_f64_f32_e32 v[8:9], v9
	v_cvt_f64_f32_e32 v[12:13], v1
	v_mul_f64 v[8:9], v[8:9], s[12:13]
	v_mul_f64 v[12:13], v[12:13], s[12:13]
	v_and_or_b32 v1, v9, s15, v8
	v_cmp_ne_u32_e32 vcc, 0, v1
	v_and_or_b32 v12, v13, s15, v12
	v_lshrrev_b32_e32 v6, 8, v9
	v_bfe_u32 v8, v9, 20, 11
	v_cndmask_b32_e64 v1, 0, 1, vcc
	v_cmp_ne_u32_e32 vcc, 0, v12
	v_lshrrev_b32_e32 v14, 8, v13
	v_bfe_u32 v15, v13, 20, 11
	v_sub_u32_e32 v16, 0x3f1, v8
	v_cndmask_b32_e64 v12, 0, 1, vcc
	v_and_or_b32 v1, v6, s10, v1
	v_sub_u32_e32 v17, 0x3f1, v15
	v_med3_i32 v6, v16, 0, 13
	v_and_or_b32 v12, v14, s10, v12
	v_or_b32_e32 v16, 0x1000, v1
	v_add_u32_e32 v8, 0xfffffc10, v8
	v_med3_i32 v14, v17, 0, 13
	v_cmp_ne_u32_e32 vcc, 0, v1
	v_or_b32_e32 v18, 0x1000, v12
	v_lshrrev_b32_e32 v20, v6, v16
	v_add_u32_e32 v15, 0xfffffc10, v15
	v_lshl_or_b32 v17, v8, 12, v1
	v_cndmask_b32_e64 v1, 0, 1, vcc
	v_cmp_ne_u32_e32 vcc, 0, v12
	v_lshrrev_b32_e32 v21, v14, v18
	v_lshlrev_b32_e32 v6, v6, v20
	v_lshl_or_b32 v19, v15, 12, v12
	v_cndmask_b32_e64 v12, 0, 1, vcc
	v_lshlrev_b32_e32 v14, v14, v21
	v_cmp_ne_u32_e32 vcc, v6, v16
	v_cndmask_b32_e64 v6, 0, 1, vcc
	v_cmp_ne_u32_e32 vcc, v14, v18
	v_cndmask_b32_e64 v14, 0, 1, vcc
	v_or_b32_e32 v6, v20, v6
	v_cmp_gt_i32_e32 vcc, 1, v8
	v_cndmask_b32_e32 v6, v17, v6, vcc
	v_or_b32_e32 v14, v21, v14
	v_cmp_gt_i32_e32 vcc, 1, v15
	v_and_b32_e32 v16, 7, v6
	v_cndmask_b32_e32 v14, v19, v14, vcc
	v_cmp_lt_i32_e32 vcc, 5, v16
	v_cmp_eq_u32_e64 s[0:1], 3, v16
	v_lshrrev_b32_e32 v6, 2, v6
	v_and_b32_e32 v17, 7, v14
	s_or_b64 vcc, s[0:1], vcc
	v_cmp_lt_i32_e64 s[2:3], 5, v17
	v_cmp_eq_u32_e64 s[4:5], 3, v17
	v_addc_co_u32_e32 v6, vcc, 0, v6, vcc
	v_lshrrev_b32_e32 v14, 2, v14
	s_or_b64 vcc, s[4:5], s[2:3]
	v_addc_co_u32_e32 v14, vcc, 0, v14, vcc
	v_cmp_gt_i32_e32 vcc, 31, v8
	v_cndmask_b32_e32 v6, v2, v6, vcc
	v_cmp_gt_i32_e32 vcc, 31, v15
	v_lshl_or_b32 v1, v1, 9, v2
	v_cndmask_b32_e32 v14, v2, v14, vcc
	v_cmp_eq_u32_e32 vcc, s11, v8
	v_lshrrev_b32_e32 v9, 16, v9
	v_lshl_or_b32 v12, v12, 9, v2
	v_cndmask_b32_e32 v1, v6, v1, vcc
	v_cmp_eq_u32_e32 vcc, s11, v15
	v_lshrrev_b32_e32 v13, 16, v13
	v_cndmask_b32_e32 v6, v14, v12, vcc
	v_and_or_b32 v1, v9, s14, v1
	v_and_or_b32 v6, v13, s14, v6
	v_and_b32_e32 v1, 0xffff, v1
	v_lshl_or_b32 v1, v6, 16, v1
	global_store_dword v[10:11], v1, off
	global_load_dword v1, v[36:37], off offset:852
	v_lshrrev_b32_e32 v6, 16, v7
	v_add_co_u32_e32 v10, vcc, s6, v10
	v_addc_co_u32_e32 v11, vcc, v11, v0, vcc
	s_waitcnt vmcnt(0)
	v_mul_f16_sdwa v8, v6, v1 dst_sel:DWORD dst_unused:UNUSED_PAD src0_sel:DWORD src1_sel:WORD_1
	v_fma_f16 v8, v7, v1, v8
	v_mul_f16_sdwa v7, v7, v1 dst_sel:DWORD dst_unused:UNUSED_PAD src0_sel:DWORD src1_sel:WORD_1
	v_cvt_f32_f16_e32 v8, v8
	v_fma_f16 v1, v1, v6, -v7
	v_cvt_f32_f16_e32 v1, v1
	v_cvt_f64_f32_e32 v[6:7], v8
	v_cvt_f64_f32_e32 v[8:9], v1
	v_mul_f64 v[6:7], v[6:7], s[12:13]
	v_mul_f64 v[8:9], v[8:9], s[12:13]
	v_and_or_b32 v1, v7, s15, v6
	v_cmp_ne_u32_e32 vcc, 0, v1
	v_and_or_b32 v8, v9, s15, v8
	v_lshrrev_b32_e32 v6, 8, v7
	v_bfe_u32 v12, v7, 20, 11
	v_cndmask_b32_e64 v1, 0, 1, vcc
	v_cmp_ne_u32_e32 vcc, 0, v8
	v_lshrrev_b32_e32 v13, 8, v9
	v_bfe_u32 v14, v9, 20, 11
	v_sub_u32_e32 v15, 0x3f1, v12
	v_cndmask_b32_e64 v8, 0, 1, vcc
	v_and_or_b32 v1, v6, s10, v1
	v_sub_u32_e32 v16, 0x3f1, v14
	v_med3_i32 v6, v15, 0, 13
	v_and_or_b32 v8, v13, s10, v8
	v_or_b32_e32 v15, 0x1000, v1
	v_add_u32_e32 v12, 0xfffffc10, v12
	v_med3_i32 v13, v16, 0, 13
	v_cmp_ne_u32_e32 vcc, 0, v1
	v_or_b32_e32 v17, 0x1000, v8
	v_lshrrev_b32_e32 v19, v6, v15
	v_add_u32_e32 v14, 0xfffffc10, v14
	v_lshl_or_b32 v16, v12, 12, v1
	v_cndmask_b32_e64 v1, 0, 1, vcc
	v_cmp_ne_u32_e32 vcc, 0, v8
	v_lshrrev_b32_e32 v20, v13, v17
	v_lshlrev_b32_e32 v6, v6, v19
	v_lshl_or_b32 v18, v14, 12, v8
	v_cndmask_b32_e64 v8, 0, 1, vcc
	v_lshlrev_b32_e32 v13, v13, v20
	v_cmp_ne_u32_e32 vcc, v6, v15
	v_cndmask_b32_e64 v6, 0, 1, vcc
	v_cmp_ne_u32_e32 vcc, v13, v17
	v_cndmask_b32_e64 v13, 0, 1, vcc
	v_or_b32_e32 v6, v19, v6
	v_cmp_gt_i32_e32 vcc, 1, v12
	v_cndmask_b32_e32 v6, v16, v6, vcc
	v_or_b32_e32 v13, v20, v13
	v_cmp_gt_i32_e32 vcc, 1, v14
	v_and_b32_e32 v15, 7, v6
	v_cndmask_b32_e32 v13, v18, v13, vcc
	v_cmp_lt_i32_e32 vcc, 5, v15
	v_cmp_eq_u32_e64 s[0:1], 3, v15
	v_lshrrev_b32_e32 v6, 2, v6
	v_and_b32_e32 v16, 7, v13
	s_or_b64 vcc, s[0:1], vcc
	v_cmp_lt_i32_e64 s[2:3], 5, v16
	v_cmp_eq_u32_e64 s[4:5], 3, v16
	v_addc_co_u32_e32 v6, vcc, 0, v6, vcc
	v_lshrrev_b32_e32 v13, 2, v13
	s_or_b64 vcc, s[4:5], s[2:3]
	v_addc_co_u32_e32 v13, vcc, 0, v13, vcc
	v_cmp_gt_i32_e32 vcc, 31, v12
	v_cndmask_b32_e32 v6, v2, v6, vcc
	v_cmp_gt_i32_e32 vcc, 31, v14
	v_lshl_or_b32 v1, v1, 9, v2
	v_cndmask_b32_e32 v13, v2, v13, vcc
	v_cmp_eq_u32_e32 vcc, s11, v12
	v_lshrrev_b32_e32 v7, 16, v7
	v_lshl_or_b32 v8, v8, 9, v2
	v_cndmask_b32_e32 v1, v6, v1, vcc
	v_cmp_eq_u32_e32 vcc, s11, v14
	v_lshrrev_b32_e32 v9, 16, v9
	v_cndmask_b32_e32 v6, v13, v8, vcc
	v_and_or_b32 v1, v7, s14, v1
	v_and_or_b32 v6, v9, s14, v6
	v_and_b32_e32 v1, 0xffff, v1
	v_lshl_or_b32 v1, v6, 16, v1
	global_store_dword v[10:11], v1, off
	global_load_dword v1, v[36:37], off offset:952
	ds_read2_b32 v[5:6], v5 offset0:110 offset1:135
	v_add_co_u32_e32 v9, vcc, s6, v10
	v_addc_co_u32_e32 v10, vcc, v11, v0, vcc
	s_waitcnt lgkmcnt(0)
	v_lshrrev_b32_e32 v7, 16, v5
	s_waitcnt vmcnt(0)
	v_mul_f16_sdwa v8, v7, v1 dst_sel:DWORD dst_unused:UNUSED_PAD src0_sel:DWORD src1_sel:WORD_1
	v_fma_f16 v8, v5, v1, v8
	v_mul_f16_sdwa v5, v5, v1 dst_sel:DWORD dst_unused:UNUSED_PAD src0_sel:DWORD src1_sel:WORD_1
	v_cvt_f32_f16_e32 v8, v8
	v_fma_f16 v1, v1, v7, -v5
	v_cvt_f32_f16_e32 v1, v1
	v_cvt_f64_f32_e32 v[7:8], v8
	v_cvt_f64_f32_e32 v[12:13], v1
	v_mul_f64 v[7:8], v[7:8], s[12:13]
	v_mul_f64 v[12:13], v[12:13], s[12:13]
	v_and_or_b32 v1, v8, s15, v7
	v_cmp_ne_u32_e32 vcc, 0, v1
	v_and_or_b32 v11, v13, s15, v12
	v_lshrrev_b32_e32 v5, 8, v8
	v_bfe_u32 v7, v8, 20, 11
	v_cndmask_b32_e64 v1, 0, 1, vcc
	v_cmp_ne_u32_e32 vcc, 0, v11
	v_lshrrev_b32_e32 v12, 8, v13
	v_bfe_u32 v14, v13, 20, 11
	v_sub_u32_e32 v15, 0x3f1, v7
	v_cndmask_b32_e64 v11, 0, 1, vcc
	v_and_or_b32 v1, v5, s10, v1
	v_sub_u32_e32 v16, 0x3f1, v14
	v_med3_i32 v5, v15, 0, 13
	v_and_or_b32 v11, v12, s10, v11
	v_or_b32_e32 v15, 0x1000, v1
	v_add_u32_e32 v7, 0xfffffc10, v7
	v_med3_i32 v12, v16, 0, 13
	v_cmp_ne_u32_e32 vcc, 0, v1
	v_or_b32_e32 v17, 0x1000, v11
	v_lshrrev_b32_e32 v19, v5, v15
	v_add_u32_e32 v14, 0xfffffc10, v14
	v_lshl_or_b32 v16, v7, 12, v1
	v_cndmask_b32_e64 v1, 0, 1, vcc
	v_cmp_ne_u32_e32 vcc, 0, v11
	v_lshrrev_b32_e32 v20, v12, v17
	v_lshlrev_b32_e32 v5, v5, v19
	v_lshl_or_b32 v18, v14, 12, v11
	v_cndmask_b32_e64 v11, 0, 1, vcc
	v_lshlrev_b32_e32 v12, v12, v20
	v_cmp_ne_u32_e32 vcc, v5, v15
	v_cndmask_b32_e64 v5, 0, 1, vcc
	v_cmp_ne_u32_e32 vcc, v12, v17
	v_cndmask_b32_e64 v12, 0, 1, vcc
	v_or_b32_e32 v5, v19, v5
	v_cmp_gt_i32_e32 vcc, 1, v7
	v_cndmask_b32_e32 v5, v16, v5, vcc
	v_or_b32_e32 v12, v20, v12
	v_cmp_gt_i32_e32 vcc, 1, v14
	v_and_b32_e32 v15, 7, v5
	v_cndmask_b32_e32 v12, v18, v12, vcc
	v_cmp_lt_i32_e32 vcc, 5, v15
	v_cmp_eq_u32_e64 s[0:1], 3, v15
	v_lshrrev_b32_e32 v5, 2, v5
	v_and_b32_e32 v16, 7, v12
	s_or_b64 vcc, s[0:1], vcc
	v_cmp_lt_i32_e64 s[2:3], 5, v16
	v_cmp_eq_u32_e64 s[4:5], 3, v16
	v_addc_co_u32_e32 v5, vcc, 0, v5, vcc
	v_lshrrev_b32_e32 v12, 2, v12
	s_or_b64 vcc, s[4:5], s[2:3]
	v_addc_co_u32_e32 v12, vcc, 0, v12, vcc
	v_cmp_gt_i32_e32 vcc, 31, v7
	v_cndmask_b32_e32 v5, v2, v5, vcc
	v_cmp_gt_i32_e32 vcc, 31, v14
	v_lshl_or_b32 v1, v1, 9, v2
	v_cndmask_b32_e32 v12, v2, v12, vcc
	v_cmp_eq_u32_e32 vcc, s11, v7
	v_lshrrev_b32_e32 v8, 16, v8
	v_lshl_or_b32 v11, v11, 9, v2
	v_cndmask_b32_e32 v1, v5, v1, vcc
	v_cmp_eq_u32_e32 vcc, s11, v14
	v_lshrrev_b32_e32 v13, 16, v13
	v_cndmask_b32_e32 v5, v12, v11, vcc
	v_and_or_b32 v1, v8, s14, v1
	v_and_or_b32 v5, v13, s14, v5
	v_and_b32_e32 v1, 0xffff, v1
	v_lshl_or_b32 v1, v5, 16, v1
	global_store_dword v[9:10], v1, off
	global_load_dword v1, v[36:37], off offset:1052
	v_lshrrev_b32_e32 v5, 16, v6
	v_add_co_u32_e32 v9, vcc, s6, v9
	v_addc_co_u32_e32 v10, vcc, v10, v0, vcc
	s_mul_i32 s6, s9, 0xc8
	s_waitcnt vmcnt(0)
	v_mul_f16_sdwa v7, v5, v1 dst_sel:DWORD dst_unused:UNUSED_PAD src0_sel:DWORD src1_sel:WORD_1
	v_fma_f16 v7, v6, v1, v7
	v_mul_f16_sdwa v6, v6, v1 dst_sel:DWORD dst_unused:UNUSED_PAD src0_sel:DWORD src1_sel:WORD_1
	v_cvt_f32_f16_e32 v7, v7
	v_fma_f16 v1, v1, v5, -v6
	v_cvt_f32_f16_e32 v1, v1
	v_cvt_f64_f32_e32 v[5:6], v7
	v_cvt_f64_f32_e32 v[7:8], v1
	v_mul_f64 v[5:6], v[5:6], s[12:13]
	v_mul_f64 v[7:8], v[7:8], s[12:13]
	v_and_or_b32 v0, v6, s15, v5
	v_cmp_ne_u32_e32 vcc, 0, v0
	v_and_or_b32 v7, v8, s15, v7
	v_lshrrev_b32_e32 v1, 8, v6
	v_bfe_u32 v5, v6, 20, 11
	v_cndmask_b32_e64 v0, 0, 1, vcc
	v_cmp_ne_u32_e32 vcc, 0, v7
	v_lshrrev_b32_e32 v11, 8, v8
	v_bfe_u32 v12, v8, 20, 11
	v_sub_u32_e32 v13, 0x3f1, v5
	v_cndmask_b32_e64 v7, 0, 1, vcc
	v_and_or_b32 v0, v1, s10, v0
	v_sub_u32_e32 v14, 0x3f1, v12
	v_med3_i32 v1, v13, 0, 13
	v_and_or_b32 v7, v11, s10, v7
	v_or_b32_e32 v13, 0x1000, v0
	v_add_u32_e32 v5, 0xfffffc10, v5
	v_med3_i32 v11, v14, 0, 13
	v_cmp_ne_u32_e32 vcc, 0, v0
	v_or_b32_e32 v15, 0x1000, v7
	v_lshrrev_b32_e32 v17, v1, v13
	v_add_u32_e32 v12, 0xfffffc10, v12
	v_lshl_or_b32 v14, v5, 12, v0
	v_cndmask_b32_e64 v0, 0, 1, vcc
	v_cmp_ne_u32_e32 vcc, 0, v7
	v_lshrrev_b32_e32 v18, v11, v15
	v_lshlrev_b32_e32 v1, v1, v17
	v_lshl_or_b32 v16, v12, 12, v7
	v_cndmask_b32_e64 v7, 0, 1, vcc
	v_lshlrev_b32_e32 v11, v11, v18
	v_cmp_ne_u32_e32 vcc, v1, v13
	v_cndmask_b32_e64 v1, 0, 1, vcc
	v_cmp_ne_u32_e32 vcc, v11, v15
	v_cndmask_b32_e64 v11, 0, 1, vcc
	v_or_b32_e32 v1, v17, v1
	v_cmp_gt_i32_e32 vcc, 1, v5
	v_cndmask_b32_e32 v1, v14, v1, vcc
	v_or_b32_e32 v11, v18, v11
	v_cmp_gt_i32_e32 vcc, 1, v12
	v_and_b32_e32 v13, 7, v1
	v_cndmask_b32_e32 v11, v16, v11, vcc
	v_cmp_lt_i32_e32 vcc, 5, v13
	v_cmp_eq_u32_e64 s[0:1], 3, v13
	v_lshrrev_b32_e32 v1, 2, v1
	v_and_b32_e32 v14, 7, v11
	s_or_b64 vcc, s[0:1], vcc
	v_cmp_lt_i32_e64 s[2:3], 5, v14
	v_cmp_eq_u32_e64 s[4:5], 3, v14
	v_addc_co_u32_e32 v1, vcc, 0, v1, vcc
	v_lshrrev_b32_e32 v11, 2, v11
	s_or_b64 vcc, s[4:5], s[2:3]
	v_addc_co_u32_e32 v11, vcc, 0, v11, vcc
	v_cmp_gt_i32_e32 vcc, 31, v5
	v_cndmask_b32_e32 v1, v2, v1, vcc
	v_cmp_gt_i32_e32 vcc, 31, v12
	v_lshl_or_b32 v0, v0, 9, v2
	v_cndmask_b32_e32 v11, v2, v11, vcc
	v_cmp_eq_u32_e32 vcc, s11, v5
	v_lshrrev_b32_e32 v6, 16, v6
	v_lshl_or_b32 v7, v7, 9, v2
	v_cndmask_b32_e32 v0, v1, v0, vcc
	v_cmp_eq_u32_e32 vcc, s11, v12
	v_lshrrev_b32_e32 v8, 16, v8
	v_cndmask_b32_e32 v1, v11, v7, vcc
	v_and_or_b32 v0, v6, s14, v0
	v_and_or_b32 v1, v8, s14, v1
	v_and_b32_e32 v0, 0xffff, v0
	v_lshl_or_b32 v0, v1, 16, v0
	global_store_dword v[9:10], v0, off
	global_load_dword v7, v[36:37], off offset:1152
	ds_read2_b32 v[0:1], v39 offset0:32 offset1:57
	v_or_b32_e32 v11, 0x120, v63
	v_mad_u64_u32 v[5:6], s[0:1], s8, v11, 0
	s_waitcnt lgkmcnt(0)
	v_lshrrev_b32_e32 v8, 16, v0
	s_waitcnt vmcnt(0)
	v_mul_f16_sdwa v12, v8, v7 dst_sel:DWORD dst_unused:UNUSED_PAD src0_sel:DWORD src1_sel:WORD_1
	v_fma_f16 v12, v0, v7, v12
	v_cvt_f32_f16_e32 v12, v12
	v_mul_f16_sdwa v0, v0, v7 dst_sel:DWORD dst_unused:UNUSED_PAD src0_sel:DWORD src1_sel:WORD_1
	v_fma_f16 v0, v7, v8, -v0
	v_cvt_f32_f16_e32 v0, v0
	v_cvt_f64_f32_e32 v[7:8], v12
	v_mad_u64_u32 v[11:12], s[0:1], s9, v11, v[6:7]
	v_cvt_f64_f32_e32 v[12:13], v0
	v_mul_f64 v[7:8], v[7:8], s[12:13]
	v_mov_b32_e32 v6, v11
	v_lshlrev_b64 v[5:6], 2, v[5:6]
	v_mul_f64 v[11:12], v[12:13], s[12:13]
	v_add_co_u32_e32 v3, vcc, v3, v5
	v_addc_co_u32_e32 v4, vcc, v4, v6, vcc
	v_and_or_b32 v0, v8, s15, v7
	v_lshrrev_b32_e32 v5, 8, v8
	v_bfe_u32 v6, v8, 20, 11
	v_lshrrev_b32_e32 v7, 16, v8
	v_and_or_b32 v8, v12, s15, v11
	v_cmp_ne_u32_e32 vcc, 0, v0
	v_cndmask_b32_e64 v0, 0, 1, vcc
	v_cmp_ne_u32_e32 vcc, 0, v8
	v_lshrrev_b32_e32 v11, 8, v12
	v_bfe_u32 v13, v12, 20, 11
	v_sub_u32_e32 v14, 0x3f1, v6
	v_cndmask_b32_e64 v8, 0, 1, vcc
	v_and_or_b32 v0, v5, s10, v0
	v_sub_u32_e32 v15, 0x3f1, v13
	v_med3_i32 v5, v14, 0, 13
	v_and_or_b32 v8, v11, s10, v8
	v_or_b32_e32 v14, 0x1000, v0
	v_add_u32_e32 v6, 0xfffffc10, v6
	v_med3_i32 v11, v15, 0, 13
	v_cmp_ne_u32_e32 vcc, 0, v0
	v_or_b32_e32 v16, 0x1000, v8
	v_lshrrev_b32_e32 v18, v5, v14
	v_add_u32_e32 v13, 0xfffffc10, v13
	v_lshl_or_b32 v15, v6, 12, v0
	v_cndmask_b32_e64 v0, 0, 1, vcc
	v_cmp_ne_u32_e32 vcc, 0, v8
	v_lshrrev_b32_e32 v19, v11, v16
	v_lshlrev_b32_e32 v5, v5, v18
	v_lshl_or_b32 v17, v13, 12, v8
	v_cndmask_b32_e64 v8, 0, 1, vcc
	v_lshlrev_b32_e32 v11, v11, v19
	v_cmp_ne_u32_e32 vcc, v5, v14
	v_cndmask_b32_e64 v5, 0, 1, vcc
	v_cmp_ne_u32_e32 vcc, v11, v16
	v_cndmask_b32_e64 v11, 0, 1, vcc
	v_or_b32_e32 v5, v18, v5
	v_cmp_gt_i32_e32 vcc, 1, v6
	v_cndmask_b32_e32 v5, v15, v5, vcc
	v_or_b32_e32 v11, v19, v11
	v_cmp_gt_i32_e32 vcc, 1, v13
	v_and_b32_e32 v14, 7, v5
	v_cndmask_b32_e32 v11, v17, v11, vcc
	v_cmp_lt_i32_e32 vcc, 5, v14
	v_cmp_eq_u32_e64 s[0:1], 3, v14
	v_lshrrev_b32_e32 v5, 2, v5
	v_and_b32_e32 v15, 7, v11
	s_or_b64 vcc, s[0:1], vcc
	v_cmp_lt_i32_e64 s[2:3], 5, v15
	v_cmp_eq_u32_e64 s[4:5], 3, v15
	v_addc_co_u32_e32 v5, vcc, 0, v5, vcc
	v_lshrrev_b32_e32 v11, 2, v11
	s_or_b64 vcc, s[4:5], s[2:3]
	v_addc_co_u32_e32 v11, vcc, 0, v11, vcc
	v_cmp_gt_i32_e32 vcc, 31, v6
	v_cndmask_b32_e32 v5, v2, v5, vcc
	v_cmp_gt_i32_e32 vcc, 31, v13
	v_lshl_or_b32 v0, v0, 9, v2
	v_cndmask_b32_e32 v11, v2, v11, vcc
	v_cmp_eq_u32_e32 vcc, s11, v6
	v_lshl_or_b32 v8, v8, 9, v2
	v_cndmask_b32_e32 v0, v5, v0, vcc
	v_cmp_eq_u32_e32 vcc, s11, v13
	v_lshrrev_b32_e32 v12, 16, v12
	v_cndmask_b32_e32 v5, v11, v8, vcc
	v_and_or_b32 v0, v7, s14, v0
	v_and_or_b32 v5, v12, s14, v5
	v_and_b32_e32 v0, 0xffff, v0
	v_lshl_or_b32 v0, v5, 16, v0
	global_store_dword v[3:4], v0, off
	global_load_dword v0, v[36:37], off offset:1252
	v_lshrrev_b32_e32 v3, 16, v1
	v_mov_b32_e32 v5, 0xc8
	v_mad_u64_u32 v[5:6], s[0:1], s8, v5, v[9:10]
	v_add_u32_e32 v6, s6, v6
	s_waitcnt vmcnt(0)
	v_mul_f16_sdwa v4, v3, v0 dst_sel:DWORD dst_unused:UNUSED_PAD src0_sel:DWORD src1_sel:WORD_1
	v_fma_f16 v4, v1, v0, v4
	v_mul_f16_sdwa v1, v1, v0 dst_sel:DWORD dst_unused:UNUSED_PAD src0_sel:DWORD src1_sel:WORD_1
	v_cvt_f32_f16_e32 v4, v4
	v_fma_f16 v0, v0, v3, -v1
	v_cvt_f32_f16_e32 v3, v0
	v_cvt_f64_f32_e32 v[0:1], v4
	v_cvt_f64_f32_e32 v[3:4], v3
	v_mul_f64 v[0:1], v[0:1], s[12:13]
	v_mul_f64 v[3:4], v[3:4], s[12:13]
	v_and_or_b32 v0, v1, s15, v0
	v_cmp_ne_u32_e32 vcc, 0, v0
	v_and_or_b32 v3, v4, s15, v3
	v_lshrrev_b32_e32 v7, 8, v1
	v_bfe_u32 v8, v1, 20, 11
	v_cndmask_b32_e64 v0, 0, 1, vcc
	v_cmp_ne_u32_e32 vcc, 0, v3
	v_lshrrev_b32_e32 v9, 8, v4
	v_bfe_u32 v10, v4, 20, 11
	v_sub_u32_e32 v11, 0x3f1, v8
	v_cndmask_b32_e64 v3, 0, 1, vcc
	v_and_or_b32 v0, v7, s10, v0
	v_sub_u32_e32 v12, 0x3f1, v10
	v_med3_i32 v7, v11, 0, 13
	v_and_or_b32 v3, v9, s10, v3
	v_or_b32_e32 v11, 0x1000, v0
	v_add_u32_e32 v8, 0xfffffc10, v8
	v_med3_i32 v9, v12, 0, 13
	v_cmp_ne_u32_e32 vcc, 0, v0
	v_or_b32_e32 v13, 0x1000, v3
	v_lshrrev_b32_e32 v15, v7, v11
	v_add_u32_e32 v10, 0xfffffc10, v10
	v_lshl_or_b32 v12, v8, 12, v0
	v_cndmask_b32_e64 v0, 0, 1, vcc
	v_cmp_ne_u32_e32 vcc, 0, v3
	v_lshrrev_b32_e32 v16, v9, v13
	v_lshlrev_b32_e32 v7, v7, v15
	v_lshl_or_b32 v14, v10, 12, v3
	v_cndmask_b32_e64 v3, 0, 1, vcc
	v_lshlrev_b32_e32 v9, v9, v16
	v_cmp_ne_u32_e32 vcc, v7, v11
	v_cndmask_b32_e64 v7, 0, 1, vcc
	v_cmp_ne_u32_e32 vcc, v9, v13
	v_cndmask_b32_e64 v9, 0, 1, vcc
	v_or_b32_e32 v7, v15, v7
	v_cmp_gt_i32_e32 vcc, 1, v8
	v_cndmask_b32_e32 v7, v12, v7, vcc
	v_or_b32_e32 v9, v16, v9
	v_cmp_gt_i32_e32 vcc, 1, v10
	v_and_b32_e32 v11, 7, v7
	v_cndmask_b32_e32 v9, v14, v9, vcc
	v_cmp_lt_i32_e32 vcc, 5, v11
	v_cmp_eq_u32_e64 s[0:1], 3, v11
	v_lshrrev_b32_e32 v7, 2, v7
	v_and_b32_e32 v12, 7, v9
	s_or_b64 vcc, s[0:1], vcc
	v_cmp_lt_i32_e64 s[2:3], 5, v12
	v_cmp_eq_u32_e64 s[4:5], 3, v12
	v_addc_co_u32_e32 v7, vcc, 0, v7, vcc
	v_lshrrev_b32_e32 v9, 2, v9
	s_or_b64 vcc, s[4:5], s[2:3]
	v_addc_co_u32_e32 v9, vcc, 0, v9, vcc
	v_cmp_gt_i32_e32 vcc, 31, v8
	v_cndmask_b32_e32 v7, v2, v7, vcc
	v_cmp_gt_i32_e32 vcc, 31, v10
	v_lshl_or_b32 v0, v0, 9, v2
	v_lshl_or_b32 v3, v3, 9, v2
	v_cndmask_b32_e32 v2, v2, v9, vcc
	v_cmp_eq_u32_e32 vcc, s11, v8
	v_lshrrev_b32_e32 v1, 16, v1
	v_cndmask_b32_e32 v0, v7, v0, vcc
	v_cmp_eq_u32_e32 vcc, s11, v10
	v_lshrrev_b32_e32 v4, 16, v4
	v_cndmask_b32_e32 v2, v2, v3, vcc
	v_and_or_b32 v0, v1, s14, v0
	v_and_or_b32 v1, v4, s14, v2
	v_and_b32_e32 v0, 0xffff, v0
	v_lshl_or_b32 v0, v1, 16, v0
	global_store_dword v[5:6], v0, off
.LBB0_15:
	s_endpgm
	.section	.rodata,"a",@progbits
	.p2align	6, 0x0
	.amdhsa_kernel bluestein_single_fwd_len325_dim1_half_op_CI_CI
		.amdhsa_group_segment_fixed_size 5200
		.amdhsa_private_segment_fixed_size 0
		.amdhsa_kernarg_size 104
		.amdhsa_user_sgpr_count 6
		.amdhsa_user_sgpr_private_segment_buffer 1
		.amdhsa_user_sgpr_dispatch_ptr 0
		.amdhsa_user_sgpr_queue_ptr 0
		.amdhsa_user_sgpr_kernarg_segment_ptr 1
		.amdhsa_user_sgpr_dispatch_id 0
		.amdhsa_user_sgpr_flat_scratch_init 0
		.amdhsa_user_sgpr_private_segment_size 0
		.amdhsa_uses_dynamic_stack 0
		.amdhsa_system_sgpr_private_segment_wavefront_offset 0
		.amdhsa_system_sgpr_workgroup_id_x 1
		.amdhsa_system_sgpr_workgroup_id_y 0
		.amdhsa_system_sgpr_workgroup_id_z 0
		.amdhsa_system_sgpr_workgroup_info 0
		.amdhsa_system_vgpr_workitem_id 0
		.amdhsa_next_free_vgpr 184
		.amdhsa_next_free_sgpr 34
		.amdhsa_reserve_vcc 1
		.amdhsa_reserve_flat_scratch 0
		.amdhsa_float_round_mode_32 0
		.amdhsa_float_round_mode_16_64 0
		.amdhsa_float_denorm_mode_32 3
		.amdhsa_float_denorm_mode_16_64 3
		.amdhsa_dx10_clamp 1
		.amdhsa_ieee_mode 1
		.amdhsa_fp16_overflow 0
		.amdhsa_exception_fp_ieee_invalid_op 0
		.amdhsa_exception_fp_denorm_src 0
		.amdhsa_exception_fp_ieee_div_zero 0
		.amdhsa_exception_fp_ieee_overflow 0
		.amdhsa_exception_fp_ieee_underflow 0
		.amdhsa_exception_fp_ieee_inexact 0
		.amdhsa_exception_int_div_zero 0
	.end_amdhsa_kernel
	.text
.Lfunc_end0:
	.size	bluestein_single_fwd_len325_dim1_half_op_CI_CI, .Lfunc_end0-bluestein_single_fwd_len325_dim1_half_op_CI_CI
                                        ; -- End function
	.section	.AMDGPU.csdata,"",@progbits
; Kernel info:
; codeLenInByte = 41768
; NumSgprs: 38
; NumVgprs: 184
; ScratchSize: 0
; MemoryBound: 0
; FloatMode: 240
; IeeeMode: 1
; LDSByteSize: 5200 bytes/workgroup (compile time only)
; SGPRBlocks: 4
; VGPRBlocks: 45
; NumSGPRsForWavesPerEU: 38
; NumVGPRsForWavesPerEU: 184
; Occupancy: 1
; WaveLimiterHint : 1
; COMPUTE_PGM_RSRC2:SCRATCH_EN: 0
; COMPUTE_PGM_RSRC2:USER_SGPR: 6
; COMPUTE_PGM_RSRC2:TRAP_HANDLER: 0
; COMPUTE_PGM_RSRC2:TGID_X_EN: 1
; COMPUTE_PGM_RSRC2:TGID_Y_EN: 0
; COMPUTE_PGM_RSRC2:TGID_Z_EN: 0
; COMPUTE_PGM_RSRC2:TIDIG_COMP_CNT: 0
	.type	__hip_cuid_5e66607126d9fe66,@object ; @__hip_cuid_5e66607126d9fe66
	.section	.bss,"aw",@nobits
	.globl	__hip_cuid_5e66607126d9fe66
__hip_cuid_5e66607126d9fe66:
	.byte	0                               ; 0x0
	.size	__hip_cuid_5e66607126d9fe66, 1

	.ident	"AMD clang version 19.0.0git (https://github.com/RadeonOpenCompute/llvm-project roc-6.4.0 25133 c7fe45cf4b819c5991fe208aaa96edf142730f1d)"
	.section	".note.GNU-stack","",@progbits
	.addrsig
	.addrsig_sym __hip_cuid_5e66607126d9fe66
	.amdgpu_metadata
---
amdhsa.kernels:
  - .args:
      - .actual_access:  read_only
        .address_space:  global
        .offset:         0
        .size:           8
        .value_kind:     global_buffer
      - .actual_access:  read_only
        .address_space:  global
        .offset:         8
        .size:           8
        .value_kind:     global_buffer
      - .actual_access:  read_only
        .address_space:  global
        .offset:         16
        .size:           8
        .value_kind:     global_buffer
      - .actual_access:  read_only
        .address_space:  global
        .offset:         24
        .size:           8
        .value_kind:     global_buffer
      - .actual_access:  read_only
        .address_space:  global
        .offset:         32
        .size:           8
        .value_kind:     global_buffer
      - .offset:         40
        .size:           8
        .value_kind:     by_value
      - .address_space:  global
        .offset:         48
        .size:           8
        .value_kind:     global_buffer
      - .address_space:  global
        .offset:         56
        .size:           8
        .value_kind:     global_buffer
      - .address_space:  global
        .offset:         64
        .size:           8
        .value_kind:     global_buffer
      - .address_space:  global
        .offset:         72
        .size:           8
        .value_kind:     global_buffer
      - .offset:         80
        .size:           4
        .value_kind:     by_value
      - .address_space:  global
        .offset:         88
        .size:           8
        .value_kind:     global_buffer
      - .address_space:  global
        .offset:         96
        .size:           8
        .value_kind:     global_buffer
    .group_segment_fixed_size: 5200
    .kernarg_segment_align: 8
    .kernarg_segment_size: 104
    .language:       OpenCL C
    .language_version:
      - 2
      - 0
    .max_flat_workgroup_size: 52
    .name:           bluestein_single_fwd_len325_dim1_half_op_CI_CI
    .private_segment_fixed_size: 0
    .sgpr_count:     38
    .sgpr_spill_count: 0
    .symbol:         bluestein_single_fwd_len325_dim1_half_op_CI_CI.kd
    .uniform_work_group_size: 1
    .uses_dynamic_stack: false
    .vgpr_count:     184
    .vgpr_spill_count: 0
    .wavefront_size: 64
amdhsa.target:   amdgcn-amd-amdhsa--gfx906
amdhsa.version:
  - 1
  - 2
...

	.end_amdgpu_metadata
